;; amdgpu-corpus repo=ROCm/aiter kind=harvested arch=n/a opt=n/a

/root/src/amdgpu-assembly/repos/ROCm__aiter/hsa/gfx950/fmoe/gelu/fmoe_bf16_blockscaleFp8_g1u1_novs_gelu_1tg_ps_32x256.co:	file format elf64-amdgpu

Disassembly of section .text:

0000000000002e00 <_ZN5aiter52fmoe_bf16_blockscaleFp8_g1u1_novs_gelu_1tg_ps_32x256E>:
	v_lshrrev_b32_e32 v1, 10, v0                               // 000000002E00: 2002008A
	v_lshrrev_b32_e32 v2, 10, v1                               // 000000002E04: 2004028A
	v_and_b32_e32 v2, 0x3ff, v2                                // 000000002E08: 260404FF 000003FF
	v_and_b32_e32 v1, 0x3ff, v1                                // 000000002E10: 260202FF 000003FF
	v_and_b32_e32 v0, 0x3ff, v0                                // 000000002E18: 260000FF 000003FF
	v_lshrrev_b32_e32 v3, 6, v0                                // 000000002E20: 20060086
	v_and_b32_e32 v0, 63, v0                                   // 000000002E24: 260000BF
	s_mov_b32 s2, s2                                           // 000000002E28: BE820002
	s_mov_b32 s3, s3                                           // 000000002E2C: BE830003
	s_mov_b32 s4, s4                                           // 000000002E30: BE840004
	s_mov_b32 s100, s2                                         // 000000002E34: BEE40002
	v_readfirstlane_b32 s7, v3                                 // 000000002E38: 7E0E0503
	s_and_b32 s1, s1, 0xffff                                   // 000000002E3C: 8601FF01 0000FFFF
	s_mov_b32 s20, 0                                           // 000000002E44: BE940080
	s_mov_b32 s59, 0                                           // 000000002E48: BEBB0080
	s_mov_b32 s101, 0                                          // 000000002E4C: BEE50080
	s_load_dword s20, s[0:1], 0x1a0                            // 000000002E50: C0020500 000001A0
	s_load_dword s59, s[0:1], 0x1b0                            // 000000002E58: C0020EC0 000001B0
	s_waitcnt lgkmcnt(0)                                       // 000000002E60: BF8CC07F
	s_cmp_eq_u32 s20, 0                                        // 000000002E64: BF068014
	s_cbranch_scc1 label_005C                                  // 000000002E68: BF850041
	v_cvt_f32_u32_e32 v52, s59                                 // 000000002E6C: 7E680C3B
	s_sub_i32 s56, 0, s59                                      // 000000002E70: 81B83B80
	v_rcp_iflag_f32_e32 v52, v52                               // 000000002E74: 7E684734
	s_nop 0                                                    // 000000002E78: BF800000
	v_mul_f32_e32 v52, 0x4f7ffffe, v52                         // 000000002E7C: 0A6868FF 4F7FFFFE
	v_cvt_u32_f32_e32 v52, v52                                 // 000000002E84: 7E680F34
	v_mul_lo_u32 v53, s56, v52                                 // 000000002E88: D2850035 00026838
	v_mul_hi_u32 v53, v52, v53                                 // 000000002E90: D2860035 00026B34
	v_add_u32_e32 v52, v52, v53                                // 000000002E98: 68686B34
	v_mul_hi_u32 v52, s20, v52                                 // 000000002E9C: D2860034 00026814
	v_mul_lo_u32 v53, v52, s59                                 // 000000002EA4: D2850035 00007734
	v_sub_u32_e32 v55, s20, v53                                // 000000002EAC: 6A6E6A14
	v_add_u32_e32 v54, 1, v52                                  // 000000002EB0: 686C6881
	v_cmp_le_u32_e32 vcc, s59, v55                             // 000000002EB4: 7D966E3B
	v_subrev_u32_e32 v53, s59, v55                             // 000000002EB8: 6C6A6E3B
	s_nop 0                                                    // 000000002EBC: BF800000
	v_cndmask_b32_e32 v52, v52, v54, vcc                       // 000000002EC0: 00686D34
	v_cndmask_b32_e32 v55, v55, v53, vcc                       // 000000002EC4: 006E6B37
	v_add_u32_e32 v53, 1, v52                                  // 000000002EC8: 686A6881
	v_cmp_le_u32_e32 vcc, s59, v55                             // 000000002ECC: 7D966E3B
	s_nop 1                                                    // 000000002ED0: BF800001
	v_cndmask_b32_e32 v55, v52, v53, vcc                       // 000000002ED4: 006E6B34
	s_nop 3                                                    // 000000002ED8: BF800003
	v_readfirstlane_b32 s73, v55                               // 000000002EDC: 7E920537
	s_nop 3                                                    // 000000002EE0: BF800003

0000000000002ee4 <label_0039>:
	s_mov_b32 s4, 1                                            // 000000002EE4: BE840081
	v_cvt_f32_u32_e32 v52, s59                                 // 000000002EE8: 7E680C3B
	s_sub_i32 s56, 0, s59                                      // 000000002EEC: 81B83B80
	v_rcp_iflag_f32_e32 v52, v52                               // 000000002EF0: 7E684734
	s_nop 0                                                    // 000000002EF4: BF800000
	v_mul_f32_e32 v52, 0x4f7ffffe, v52                         // 000000002EF8: 0A6868FF 4F7FFFFE
	v_cvt_u32_f32_e32 v52, v52                                 // 000000002F00: 7E680F34
	v_mul_lo_u32 v53, s56, v52                                 // 000000002F04: D2850035 00026838
	v_mul_hi_u32 v53, v52, v53                                 // 000000002F0C: D2860035 00026B34
	v_add_u32_e32 v52, v52, v53                                // 000000002F14: 68686B34
	v_mul_hi_u32 v52, s100, v52                                // 000000002F18: D2860034 00026864
	v_mul_lo_u32 v53, v52, s59                                 // 000000002F20: D2850035 00007734
	v_sub_u32_e32 v55, s100, v53                               // 000000002F28: 6A6E6A64
	v_add_u32_e32 v54, 1, v52                                  // 000000002F2C: 686C6881
	v_cmp_le_u32_e32 vcc, s59, v55                             // 000000002F30: 7D966E3B
	v_subrev_u32_e32 v53, s59, v55                             // 000000002F34: 6C6A6E3B
	s_nop 0                                                    // 000000002F38: BF800000
	v_cndmask_b32_e32 v52, v52, v54, vcc                       // 000000002F3C: 00686D34
	v_cndmask_b32_e32 v55, v55, v53, vcc                       // 000000002F40: 006E6B37
	v_add_u32_e32 v53, 1, v52                                  // 000000002F44: 686A6881
	v_cmp_le_u32_e32 vcc, s59, v55                             // 000000002F48: 7D966E3B
	s_nop 1                                                    // 000000002F4C: BF800001
	v_cndmask_b32_e32 v55, v52, v53, vcc                       // 000000002F50: 006E6B34
	s_nop 3                                                    // 000000002F54: BF800003
	v_readfirstlane_b32 s3, v55                                // 000000002F58: 7E060537
	s_nop 3                                                    // 000000002F5C: BF800003
	s_mul_i32 s56, s3, s59                                     // 000000002F60: 92383B03
	s_sub_u32 s2, s100, s56                                    // 000000002F64: 80823864
	s_mul_i32 s56, s73, s101                                   // 000000002F68: 92386549
	s_add_i32 s3, s3, s56                                      // 000000002F6C: 81033803

0000000000002f70 <label_005C>:
	s_and_b32 s1, s1, 0xffff                                   // 000000002F70: 8601FF01 0000FFFF
	s_load_dwordx2 s[8:9], s[0:1], 0x0                         // 000000002F78: C0060200 00000000
	s_load_dwordx2 s[20:21], s[0:1], 0x10                      // 000000002F80: C0060500 00000010
	s_load_dwordx2 s[24:25], s[0:1], 0x20                      // 000000002F88: C0060600 00000020
	s_load_dwordx2 s[50:51], s[0:1], 0x30                      // 000000002F90: C0060C80 00000030
	s_load_dwordx2 s[12:13], s[0:1], 0x40                      // 000000002F98: C0060300 00000040
	s_load_dwordx2 s[28:29], s[0:1], 0x50                      // 000000002FA0: C0060700 00000050
	s_load_dwordx2 s[32:33], s[0:1], 0x60                      // 000000002FA8: C0060800 00000060
	s_load_dwordx2 s[16:17], s[0:1], 0x70                      // 000000002FB0: C0060400 00000070
	s_load_dwordx2 s[36:37], s[0:1], 0x80                      // 000000002FB8: C0060900 00000080
	s_load_dwordx2 s[44:45], s[0:1], 0x90                      // 000000002FC0: C0060B00 00000090
	s_load_dwordx2 s[40:41], s[0:1], 0xa0                      // 000000002FC8: C0060A00 000000A0
	s_load_dwordx2 s[46:47], s[0:1], 0xb0                      // 000000002FD0: C0060B80 000000B0
	s_load_dword s60, s[0:1], 0xc0                             // 000000002FD8: C0020F00 000000C0
	s_load_dword s61, s[0:1], 0xd0                             // 000000002FE0: C0020F40 000000D0
	s_load_dword s63, s[0:1], 0xf0                             // 000000002FE8: C0020FC0 000000F0
	s_load_dword s64, s[0:1], 0x100                            // 000000002FF0: C0021000 00000100
	s_load_dword s65, s[0:1], 0x110                            // 000000002FF8: C0021040 00000110
	s_load_dword s66, s[0:1], 0x120                            // 000000003000: C0021080 00000120
	s_load_dword s67, s[0:1], 0x130                            // 000000003008: C00210C0 00000130
	s_load_dword s68, s[0:1], 0x140                            // 000000003010: C0021100 00000140
	s_load_dword s69, s[0:1], 0x150                            // 000000003018: C0021140 00000150
	s_load_dword s70, s[0:1], 0x160                            // 000000003020: C0021180 00000160
	s_load_dword s71, s[0:1], 0x170                            // 000000003028: C00211C0 00000170
	s_load_dword s72, s[0:1], 0x180                            // 000000003030: C0021200 00000180
	s_mov_b32 s2, s2                                           // 000000003038: BE820002
	s_mov_b32 s3, s3                                           // 00000000303C: BE830003
	s_mov_b32 s4, s4                                           // 000000003040: BE840004
	s_waitcnt lgkmcnt(0)                                       // 000000003044: BF8CC07F
	s_and_b32 s51, s51, 0xffff                                 // 000000003048: 8633FF33 0000FFFF
	s_load_dword s62, s[50:51], 0x4                            // 000000003050: C0020F99 00000004
	s_load_dword s50, s[50:51], 0x0                            // 000000003058: C0020C99 00000000
	s_waitcnt lgkmcnt(0)                                       // 000000003060: BF8CC07F
	s_and_b32 s45, s45, 0xffff                                 // 000000003064: 862DFF2D 0000FFFF
	s_and_b32 s47, s47, 0xffff                                 // 00000000306C: 862FFF2F 0000FFFF
	s_and_b32 s9, s9, 0xffff                                   // 000000003074: 8609FF09 0000FFFF
	s_mul_i32 s56, s62, s64                                    // 00000000307C: 9238403E
	s_mul_i32 s57, s62, 4                                      // 000000003080: 9239843E
	s_mov_b32 s22, s56                                         // 000000003084: BE960038
	s_mov_b32 s26, -16                                         // 000000003088: BE9A00D0
	s_mov_b32 s14, -16                                         // 00000000308C: BE8E00D0
	s_mov_b32 s42, -16                                         // 000000003090: BEAA00D0
	s_mov_b32 s30, -16                                         // 000000003094: BE9E00D0
	s_mov_b32 s34, -16                                         // 000000003098: BEA200D0
	s_mov_b32 s38, -16                                         // 00000000309C: BEA600D0
	s_mov_b32 s18, -16                                         // 0000000030A0: BE9200D0
	s_mul_i32 s56, s62, s67                                    // 0000000030A4: 9238433E
	s_mov_b32 s10, s56                                         // 0000000030A8: BE8A0038
	s_mov_b32 s23, 0x20000                                     // 0000000030AC: BE9700FF 00020000
	s_mov_b32 s27, 0x20000                                     // 0000000030B4: BE9B00FF 00020000
	s_mov_b32 s15, 0x20000                                     // 0000000030BC: BE8F00FF 00020000
	s_mov_b32 s43, 0x20000                                     // 0000000030C4: BEAB00FF 00020000
	s_mov_b32 s31, 0x20000                                     // 0000000030CC: BE9F00FF 00020000
	s_mov_b32 s35, 0x20000                                     // 0000000030D4: BEA300FF 00020000
	s_mov_b32 s39, 0x20000                                     // 0000000030DC: BEA700FF 00020000
	s_mov_b32 s19, 0x20000                                     // 0000000030E4: BE9300FF 00020000
	s_mov_b32 s11, 0x20000                                     // 0000000030EC: BE8B00FF 00020000
	s_and_b32 s21, s21, 0xffff                                 // 0000000030F4: 8615FF15 0000FFFF
	s_and_b32 s25, s25, 0xffff                                 // 0000000030FC: 8619FF19 0000FFFF
	s_and_b32 s13, s13, 0xffff                                 // 000000003104: 860DFF0D 0000FFFF
	s_and_b32 s41, s41, 0xffff                                 // 00000000310C: 8629FF29 0000FFFF
	s_and_b32 s29, s29, 0xffff                                 // 000000003114: 861DFF1D 0000FFFF
	s_and_b32 s33, s33, 0xffff                                 // 00000000311C: 8621FF21 0000FFFF
	s_and_b32 s37, s37, 0xffff                                 // 000000003124: 8625FF25 0000FFFF
	s_and_b32 s17, s17, 0xffff                                 // 00000000312C: 8611FF11 0000FFFF
	s_or_b32 s21, s21, 0x40000                                 // 000000003134: 8715FF15 00040000
	s_or_b32 s25, s25, 0x40000                                 // 00000000313C: 8719FF19 00040000
	s_or_b32 s13, s13, 0x40000                                 // 000000003144: 870DFF0D 00040000
	s_or_b32 s41, s41, 0x40000                                 // 00000000314C: 8729FF29 00040000
	s_or_b32 s29, s29, 0x40000                                 // 000000003154: 871DFF1D 00040000
	s_or_b32 s33, s33, 0x40000                                 // 00000000315C: 8721FF21 00040000
	s_or_b32 s37, s37, 0x40000                                 // 000000003164: 8725FF25 00040000
	s_or_b32 s17, s17, 0x40000                                 // 00000000316C: 8711FF11 00040000
	v_accvgpr_write_b32 a191, 0                                // 000000003174: D3D940BF 18000080
	v_mov_b32_e32 v223, 0                                      // 00000000317C: 7FBE0280
	s_waitcnt lgkmcnt(0)                                       // 000000003180: BF8CC07F
	s_mul_i32 s56, s3, 32                                      // 000000003184: 9238A003
	s_cmp_lt_i32 s56, s50                                      // 000000003188: BF043238
	s_cbranch_scc0 label_16D9                                  // 00000000318C: BF8415F5
	s_mov_b32 s76, 0                                           // 000000003190: BECC0080
	s_mov_b32 s77, s60                                         // 000000003194: BECD003C
	s_mul_i32 s56, s3, 4                                       // 000000003198: 92388403
	s_add_u32 s46, s56, s46                                    // 00000000319C: 802E2E38
	s_addc_u32 s47, 0, s47                                     // 0000000031A0: 822F2F80
	s_load_dword s5, s[46:47], 0x0                             // 0000000031A4: C0020157 00000000
	s_mul_i32 s56, s3, 32                                      // 0000000031AC: 9238A003
	s_mul_i32 s56, 4, s56                                      // 0000000031B0: 92383884
	v_and_b32_e32 v52, 15, v0                                  // 0000000031B4: 2668008F
	v_lshlrev_b32_e32 v52, 2, v52                              // 0000000031B8: 24686882
	v_add_u32_e32 v52, s56, v52                                // 0000000031BC: 68686838
	v_mov_b32_e32 v53, 0                                       // 0000000031C0: 7E6A0280
	global_load_dword v9, v52, s[44:45]                        // 0000000031C4: DC508000 092C0034
	v_add_u32_e32 v52, 64, v52                                 // 0000000031CC: 686868C0
	global_load_dword v10, v52, s[44:45]                       // 0000000031D0: DC508000 0A2C0034
	s_mul_i32 s56, s3, 32                                      // 0000000031D8: 9238A003
	s_lshr_b32 s57, s7, 1                                      // 0000000031DC: 8F398107
	s_mul_i32 s57, s57, 8                                      // 0000000031E0: 92398839
	s_add_u32 s56, s57, s56                                    // 0000000031E4: 80383839
	s_and_b32 s57, s7, 1                                       // 0000000031E8: 86398107
	s_mul_i32 s57, s57, 2                                      // 0000000031EC: 92398239
	s_add_u32 s56, s57, s56                                    // 0000000031F0: 80383839
	s_mul_i32 s56, 4, s56                                      // 0000000031F4: 92383884
	s_add_u32 s44, s56, s44                                    // 0000000031F8: 802C2C38
	s_addc_u32 s45, 0, s45                                     // 0000000031FC: 822D2D80
	s_load_dword s78, s[44:45], 0x0                            // 000000003200: C0021396 00000000
	s_load_dword s79, s[44:45], 0x4                            // 000000003208: C00213D6 00000004
	s_load_dword s80, s[44:45], 0x10                           // 000000003210: C0021416 00000010
	s_load_dword s81, s[44:45], 0x14                           // 000000003218: C0021456 00000014
	s_load_dword s82, s[44:45], 0x40                           // 000000003220: C0021496 00000040
	s_load_dword s83, s[44:45], 0x44                           // 000000003228: C00214D6 00000044
	s_load_dword s84, s[44:45], 0x50                           // 000000003230: C0021516 00000050
	s_load_dword s85, s[44:45], 0x54                           // 000000003238: C0021556 00000054
	s_waitcnt lgkmcnt(0)                                       // 000000003240: BF8CC07F
	s_and_b32 s78, s78, 0xffffff                               // 000000003244: 864EFF4E 00FFFFFF
	s_mul_i32 s58, s78, s64                                    // 00000000324C: 923A404E
	s_lshl_b32 s56, 0xff, 0                                    // 000000003250: 8E3880FF 000000FF
	s_mov_b32 s57, 0                                           // 000000003258: BEB90080
	s_mov_b64 exec, s[56:57]                                   // 00000000325C: BEFE0138
	v_mov_b32_e32 v35, s58                                     // 000000003260: 7E46023A
	s_and_b32 s79, s79, 0xffffff                               // 000000003264: 864FFF4F 00FFFFFF
	s_mul_i32 s58, s79, s64                                    // 00000000326C: 923A404F
	s_lshl_b32 s56, 0xff, 8                                    // 000000003270: 8E3888FF 000000FF
	s_mov_b64 exec, s[56:57]                                   // 000000003278: BEFE0138
	v_mov_b32_e32 v35, s58                                     // 00000000327C: 7E46023A
	s_and_b32 s80, s80, 0xffffff                               // 000000003280: 8650FF50 00FFFFFF
	s_mul_i32 s58, s80, s64                                    // 000000003288: 923A4050
	s_lshl_b32 s56, 0xff, 16                                   // 00000000328C: 8E3890FF 000000FF
	s_mov_b64 exec, s[56:57]                                   // 000000003294: BEFE0138
	v_mov_b32_e32 v35, s58                                     // 000000003298: 7E46023A
	s_and_b32 s81, s81, 0xffffff                               // 00000000329C: 8651FF51 00FFFFFF
	s_mul_i32 s58, s81, s64                                    // 0000000032A4: 923A4051
	s_lshl_b32 s56, 0xff, 24                                   // 0000000032A8: 8E3898FF 000000FF
	s_mov_b64 exec, s[56:57]                                   // 0000000032B0: BEFE0138
	v_mov_b32_e32 v35, s58                                     // 0000000032B4: 7E46023A
	s_and_b32 s82, s82, 0xffffff                               // 0000000032B8: 8652FF52 00FFFFFF
	s_mul_i32 s58, s82, s64                                    // 0000000032C0: 923A4052
	s_lshl_b32 s57, 0xff, 0                                    // 0000000032C4: 8E3980FF 000000FF
	s_mov_b32 s56, 0                                           // 0000000032CC: BEB80080
	s_mov_b64 exec, s[56:57]                                   // 0000000032D0: BEFE0138
	v_mov_b32_e32 v35, s58                                     // 0000000032D4: 7E46023A
	s_and_b32 s83, s83, 0xffffff                               // 0000000032D8: 8653FF53 00FFFFFF
	s_mul_i32 s58, s83, s64                                    // 0000000032E0: 923A4053
	s_lshl_b32 s57, 0xff, 8                                    // 0000000032E4: 8E3988FF 000000FF
	s_mov_b64 exec, s[56:57]                                   // 0000000032EC: BEFE0138
	v_mov_b32_e32 v35, s58                                     // 0000000032F0: 7E46023A
	s_and_b32 s84, s84, 0xffffff                               // 0000000032F4: 8654FF54 00FFFFFF
	s_mul_i32 s58, s84, s64                                    // 0000000032FC: 923A4054
	s_lshl_b32 s57, 0xff, 16                                   // 000000003300: 8E3990FF 000000FF
	s_mov_b64 exec, s[56:57]                                   // 000000003308: BEFE0138
	v_mov_b32_e32 v35, s58                                     // 00000000330C: 7E46023A
	s_and_b32 s85, s85, 0xffffff                               // 000000003310: 8655FF55 00FFFFFF
	s_mul_i32 s58, s85, s64                                    // 000000003318: 923A4055
	s_lshl_b32 s57, 0xff, 24                                   // 00000000331C: 8E3998FF 000000FF
	s_mov_b64 exec, s[56:57]                                   // 000000003324: BEFE0138
	v_mov_b32_e32 v35, s58                                     // 000000003328: 7E46023A
	s_mov_b32 s56, -1                                          // 00000000332C: BEB800C1
	s_mov_b32 s57, -1                                          // 000000003330: BEB900C1
	s_mov_b64 exec, s[56:57]                                   // 000000003334: BEFE0138
	v_and_b32_e64 v52, v0, 7                                   // 000000003338: D1130034 00010F00
	v_lshlrev_b32_e32 v52, 4, v52                              // 000000003340: 24686884
	s_mov_b32 s58, 0x80                                        // 000000003344: BEBA00FF 00000080
	v_add_u32_e32 v35, v35, v52                                // 00000000334C: 68466923
	v_add_u32_e64 v36, v35, s58                                // 000000003350: D1340024 00007523
	v_add_u32_e32 v37, v37, v52                                // 000000003358: 684A6925
	v_add_u32_e64 v38, v37, s58                                // 00000000335C: D1340026 00007525
	v_add_u32_e32 v39, v39, v52                                // 000000003364: 684E6927
	v_add_u32_e64 v40, v39, s58                                // 000000003368: D1340028 00007527
	v_add_u32_e32 v41, v41, v52                                // 000000003370: 68526929
	v_add_u32_e64 v42, v41, s58                                // 000000003374: D134002A 00007529
	v_add_u32_e32 v43, v43, v52                                // 00000000337C: 6856692B
	v_add_u32_e64 v44, v43, s58                                // 000000003380: D134002C 0000752B
	v_add_u32_e32 v45, v45, v52                                // 000000003388: 685A692D
	v_add_u32_e64 v46, v45, s58                                // 00000000338C: D134002E 0000752D
	v_add_u32_e32 v47, v47, v52                                // 000000003394: 685E692F
	v_add_u32_e64 v48, v47, s58                                // 000000003398: D1340030 0000752F
	v_add_u32_e32 v49, v49, v52                                // 0000000033A0: 68626931
	v_add_u32_e64 v50, v49, s58                                // 0000000033A4: D1340032 00007531
	v_add_u32_e32 v51, v51, v52                                // 0000000033AC: 68666933
	v_add_u32_e64 v52, v51, s58                                // 0000000033B0: D1340034 00007533
	v_add_u32_e32 v53, v53, v52                                // 0000000033B8: 686A6935
	v_add_u32_e64 v54, v53, s58                                // 0000000033BC: D1340036 00007535
	v_add_u32_e32 v55, v55, v52                                // 0000000033C4: 686E6937
	v_add_u32_e64 v56, v55, s58                                // 0000000033C8: D1340038 00007537
	v_add_u32_e32 v57, v57, v52                                // 0000000033D0: 68726939
	v_add_u32_e64 v58, v57, s58                                // 0000000033D4: D134003A 00007539
	v_add_u32_e32 v59, v59, v52                                // 0000000033DC: 6876693B
	v_add_u32_e64 v60, v59, s58                                // 0000000033E0: D134003C 0000753B
	v_add_u32_e32 v61, v61, v52                                // 0000000033E8: 687A693D
	v_add_u32_e64 v62, v61, s58                                // 0000000033EC: D134003E 0000753D
	v_add_u32_e32 v63, v63, v52                                // 0000000033F4: 687E693F
	v_add_u32_e64 v64, v63, s58                                // 0000000033F8: D1340040 0000753F
	v_add_u32_e32 v65, v65, v52                                // 000000003400: 68826941
	v_add_u32_e64 v66, v65, s58                                // 000000003404: D1340042 00007541
	v_lshlrev_b32_e32 v52, 2, v0                               // 00000000340C: 24680082
	s_mul_i32 s56, s78, s67                                    // 000000003410: 9238434E
	v_add_u32_e64 v80, v52, s56                                // 000000003414: D1340050 00007134
	v_mov_b32_e32 v81, 0                                       // 00000000341C: 7EA20280
	s_mul_i32 s56, s79, s67                                    // 000000003420: 9238434F
	v_add_u32_e64 v82, v52, s56                                // 000000003424: D1340052 00007134
	v_mov_b32_e32 v83, 0                                       // 00000000342C: 7EA60280
	s_mul_i32 s56, s80, s67                                    // 000000003430: 92384350
	v_add_u32_e64 v84, v52, s56                                // 000000003434: D1340054 00007134
	v_mov_b32_e32 v85, 0                                       // 00000000343C: 7EAA0280
	s_mul_i32 s56, s81, s67                                    // 000000003440: 92384351
	v_add_u32_e64 v86, v52, s56                                // 000000003444: D1340056 00007134
	v_mov_b32_e32 v87, 0                                       // 00000000344C: 7EAE0280
	s_mul_i32 s56, s82, s67                                    // 000000003450: 92384352
	v_add_u32_e64 v88, v52, s56                                // 000000003454: D1340058 00007134
	v_mov_b32_e32 v89, 0                                       // 00000000345C: 7EB20280
	s_mul_i32 s56, s83, s67                                    // 000000003460: 92384353
	v_add_u32_e64 v90, v52, s56                                // 000000003464: D134005A 00007134
	v_mov_b32_e32 v91, 0                                       // 00000000346C: 7EB60280
	s_mul_i32 s56, s84, s67                                    // 000000003470: 92384354
	v_add_u32_e64 v92, v52, s56                                // 000000003474: D134005C 00007134
	v_mov_b32_e32 v93, 0                                       // 00000000347C: 7EBA0280
	s_mul_i32 s56, s85, s67                                    // 000000003480: 92384355
	v_add_u32_e64 v94, v52, s56                                // 000000003484: D134005E 00007134
	v_mov_b32_e32 v95, 0                                       // 00000000348C: 7EBE0280
	s_mul_i32 s56, s7, 0x420                                   // 000000003490: 9238FF07 00000420
	s_add_u32 s48, 0, s56                                      // 000000003498: 80303880
	s_add_u32 s49, 0x2500, s48                                 // 00000000349C: 803130FF 00002500
	s_add_u32 s50, 0, s56                                      // 0000000034A4: 80323880
	s_add_u32 s51, 0x2500, s50                                 // 0000000034A8: 803332FF 00002500
	v_and_b32_e32 v52, 15, v0                                  // 0000000034B0: 2668008F
	v_lshrrev_b32_e32 v53, 3, v52                              // 0000000034B4: 206A6883
	v_mul_lo_u32 v53, 2, v53                                   // 0000000034B8: D2850035 00026A82
	v_and_b32_e32 v52, 3, v0                                   // 0000000034C0: 26680083
	v_lshrrev_b32_e32 v54, 1, v52                              // 0000000034C4: 206C6881
	v_add_u32_e32 v52, v53, v54                                // 0000000034C8: 68686D35
	v_mul_i32_i24_e32 v2, 0x420, v52                           // 0000000034CC: 0C0468FF 00000420
	v_and_b32_e32 v52, 7, v0                                   // 0000000034D4: 26680087
	v_lshrrev_b32_e32 v53, 2, v52                              // 0000000034D8: 206A6882
	v_mul_i32_i24_e32 v53, 0x100, v53                          // 0000000034DC: 0C6A6AFF 00000100
	v_and_b32_e32 v52, 1, v0                                   // 0000000034E4: 26680081
	v_mul_i32_i24_e32 v54, 0x80, v52                           // 0000000034E8: 0C6C68FF 00000080
	v_add_u32_e32 v2, v53, v2                                  // 0000000034F0: 68040535
	v_add_u32_e32 v2, v54, v2                                  // 0000000034F4: 68040536
	v_lshrrev_b32_e32 v52, 4, v0                               // 0000000034F8: 20680084
	v_mul_lo_u32 v52, 16, v52                                  // 0000000034FC: D2850034 00026890
	v_add_u32_e32 v2, v52, v2                                  // 000000003504: 68040534
	s_mul_i32 s56, s2, 0x100                                   // 000000003508: 9238FF02 00000100
	s_mul_i32 s56, s56, s65                                    // 000000003510: 92384138
	s_mul_i32 s57, s5, s68                                     // 000000003514: 92394405
	s_add_u32 s56, s57, s56                                    // 000000003518: 80383839
	s_add_u32 s24, s56, s24                                    // 00000000351C: 80181838
	s_addc_u32 s25, 0, s25                                     // 000000003520: 82191980
	s_mul_i32 s56, s7, 16                                      // 000000003524: 92389007
	s_mul_i32 s56, s56, s65                                    // 000000003528: 92384138
	v_lshlrev_b32_e32 v39, 4, v0                               // 00000000352C: 244E0084
	v_add_u32_e32 v39, s56, v39                                // 000000003530: 684E4E38
	s_mul_i32 s56, 64, s65                                     // 000000003534: 923841C0
	v_add_u32_e32 v40, s56, v39                                // 000000003538: 68504E38
	v_add_u32_e32 v41, s56, v40                                // 00000000353C: 68525038
	v_add_u32_e32 v42, s56, v41                                // 000000003540: 68545238
	s_mov_b32 s96, s24                                         // 000000003544: BEE00018
	s_mov_b32 s97, s25                                         // 000000003548: BEE10019
	s_mov_b32 s98, s26                                         // 00000000354C: BEE2001A
	s_mov_b32 s99, s27                                         // 000000003550: BEE3001B
	s_mul_i32 s56, s65, s61                                    // 000000003554: 92383D41
	s_add_u32 s96, s56, s96                                    // 000000003558: 80606038
	s_addc_u32 s97, 0, s97                                     // 00000000355C: 82616180
	s_mul_i32 s56, s2, 0x1000                                  // 000000003560: 9238FF02 00001000
	s_mul_i32 s57, s5, s69                                     // 000000003568: 92394505
	s_add_u32 s56, s57, s56                                    // 00000000356C: 80383839
	s_add_u32 s12, s56, s12                                    // 000000003570: 800C0C38
	s_addc_u32 s13, 0, s13                                     // 000000003574: 820D0D80
	s_mul_i32 s56, s7, 16                                      // 000000003578: 92389007
	s_mul_i32 s56, s56, s66                                    // 00000000357C: 92384238
	v_lshlrev_b32_e32 v43, 4, v0                               // 000000003580: 24560084
	v_add_u32_e32 v43, s56, v43                                // 000000003584: 68565638
	s_mul_i32 s56, 64, s66                                     // 000000003588: 923842C0
	v_add_u32_e32 v44, s56, v43                                // 00000000358C: 68585638
	v_add_u32_e32 v45, s56, v44                                // 000000003590: 685A5838
	v_add_u32_e32 v46, s56, v45                                // 000000003594: 685C5A38
	s_mul_i32 s56, s66, 0x100                                  // 000000003598: 9238FF42 00000100
	s_mov_b32 s74, 0x800                                       // 0000000035A0: BECA00FF 00000800
	s_mul_i32 s57, s74, 1                                      // 0000000035A8: 9239814A
	s_sub_u32 s52, s56, s57                                    // 0000000035AC: 80B43938
	s_mul_i32 s56, s3, 32                                      // 0000000035B0: 9238A003
	s_mul_i32 s56, 4, s56                                      // 0000000035B4: 92383884
	s_add_u32 s40, s56, s40                                    // 0000000035B8: 80282838
	s_addc_u32 s41, 0, s41                                     // 0000000035BC: 82292980
	v_and_b32_e32 v52, 15, v0                                  // 0000000035C0: 2668008F
	v_lshlrev_b32_e32 v13, 2, v52                              // 0000000035C4: 241A6882
	v_add_u32_e32 v14, 64, v13                                 // 0000000035C8: 681C1AC0
	v_add_u32_e32 v15, 64, v14                                 // 0000000035CC: 681E1CC0
	v_add_u32_e32 v16, 64, v15                                 // 0000000035D0: 68201EC0
	s_lshr_b32 s56, s60, 7                                     // 0000000035D4: 8F38873C
	s_mul_i32 s57, s56, 4                                      // 0000000035D8: 92398438
	v_and_b32_e64 v17, v0, 1                                   // 0000000035DC: D1130011 00010300
	v_mul_lo_u32 v17, v17, s57                                 // 0000000035E4: D2850011 00007311
	v_and_b32_e64 v52, v0, 3                                   // 0000000035EC: D1130034 00010700
	v_lshrrev_b32_e32 v52, 1, v52                              // 0000000035F4: 20686881
	v_mul_lo_u32 v52, 4, v52                                   // 0000000035F8: D2850034 00026884
	v_add_u32_e32 v17, v17, v52                                // 000000003600: 68226911
	s_lshr_b32 s56, s61, 7                                     // 000000003604: 8F38873D
	s_mul_i32 s56, s56, s57                                    // 000000003608: 92383938
	v_add_u32_e64 v19, v17, s56                                // 00000000360C: D1340013 00007111
	s_mov_b32 s4, 8                                            // 000000003614: BE840088
	s_mul_i32 s56, s2, 2                                       // 000000003618: 92388202
	s_mul_i32 s56, s56, s57                                    // 00000000361C: 92383938
	s_mul_i32 s57, s5, s70                                     // 000000003620: 92394605
	s_add_u32 s57, s57, s56                                    // 000000003624: 80393839
	s_add_u32 s32, s57, s32                                    // 000000003628: 80202039
	s_addc_u32 s33, 0, s33                                     // 00000000362C: 82212180
	s_lshr_b32 s56, s61, 7                                     // 000000003630: 8F38873D
	s_mul_i32 s57, s56, 4                                      // 000000003634: 92398438
	s_mul_i32 s56, s2, 2                                       // 000000003638: 92388202
	s_mul_i32 s56, s56, 4                                      // 00000000363C: 92388438
	v_and_b32_e64 v8, v0, 1                                    // 000000003640: D1130008 00010300
	v_mul_lo_u32 v8, v8, s57                                   // 000000003648: D2850008 00007308
	v_and_b32_e64 v52, v0, 3                                   // 000000003650: D1130034 00010700
	v_lshrrev_b32_e32 v52, 1, v52                              // 000000003658: 20686881
	v_mul_lo_u32 v52, 4, v52                                   // 00000000365C: D2850034 00026884
	v_add_i32 v8, v8, v52                                      // 000000003664: D29C0008 00026908
	v_add_i32 v8, v8, s56                                      // 00000000366C: D29C0008 00007108
	s_mul_i32 s56, s5, s71                                     // 000000003674: 92384705
	s_add_u32 s16, s56, s16                                    // 000000003678: 80101038
	s_addc_u32 s17, 0, s17                                     // 00000000367C: 82111180
	s_mov_b32 s53, 0x100                                       // 000000003680: BEB500FF 00000100
	s_mov_b32 s54, 0x1000                                      // 000000003688: BEB600FF 00001000
	s_mul_i32 s75, 2, s57                                      // 000000003690: 924B3982
	s_mov_b32 s55, 0                                           // 000000003694: BEB70080
	s_mov_b32 s94, s54                                         // 000000003698: BEDE0036
	s_mov_b32 s6, 0x3fb8aa3b                                   // 00000000369C: BE8600FF 3FB8AA3B
	s_mov_b32 m0, s48                                          // 0000000036A4: BEFC0030
	v_mov_b32_e32 v1, 0xbfcc4231                               // 0000000036A8: 7E0202FF BFCC4231
	v_mov_b32_e32 v48, 0xffff0000                              // 0000000036B0: 7E6002FF FFFF0000
	v_mov_b32_e32 v49, 0x7fff0000                              // 0000000036B8: 7E6202FF 7FFF0000
	v_mov_b32_e32 v50, 0x7fff                                  // 0000000036C0: 7E6402FF 00007FFF
	s_waitcnt vmcnt(0) expcnt(0) lgkmcnt(0)                    // 0000000036C8: BF8C0000
	v_and_b32_e32 v9, 0xffffff, v9                             // 0000000036CC: 261212FF 00FFFFFF
	v_lshlrev_b32_e32 v9, 2, v9                                // 0000000036D4: 24121282
	v_and_b32_e32 v10, 0xffffff, v10                           // 0000000036D8: 261414FF 00FFFFFF
	v_lshlrev_b32_e32 v10, 2, v10                              // 0000000036E0: 24141482
	s_lshr_b32 s56, s7, 1                                      // 0000000036E4: 8F388107
	s_lshl_b32 s3, s62, 2                                      // 0000000036E8: 8E03823E
	s_mul_i32 s56, s56, s3                                     // 0000000036EC: 92380338
	s_add_u32 s28, s28, s56                                    // 0000000036F0: 801C381C
	s_addc_u32 s29, 0, s29                                     // 0000000036F4: 821D1D80
	s_mov_b32 s30, s3                                          // 0000000036F8: BE9E0003
	s_lshl_b32 s3, s3, 1                                       // 0000000036FC: 8E038103
	s_and_b32 s57, s7, 1                                       // 000000003700: 86398107
	s_cmp_eq_u32 s57, 1                                        // 000000003704: BF068139
	s_cselect_b32 s56, 0, 1                                    // 000000003708: 85388180
	v_mul_lo_u32 v52, v9, s56                                  // 00000000370C: D2850034 00007109
	v_mul_lo_u32 v53, v10, s57                                 // 000000003714: D2850035 0000730A
	v_add_u32_e32 v52, v52, v53                                // 00000000371C: 68686B34
	v_mov_b32_e32 v9, v52                                      // 000000003720: 7E120334
	s_mul_i32 s56, s7, 0x100                                   // 000000003724: 9238FF07 00000100
	s_sub_u32 s57, 4, s7                                       // 00000000372C: 80B90784
	s_mul_i32 s57, s57, 0x420                                  // 000000003730: 9239FF39 00000420
	s_add_u32 s72, s56, s57                                    // 000000003738: 80483938
	v_lshlrev_b32_e32 v3, 2, v0                                // 00000000373C: 24060082
	buffer_load_dword v29, v17, s[32:35], 0 offen              // 000000003740: E0501000 80081D11
	buffer_load_dword v31, v13, s[40:43], 0 offen              // 000000003748: E0501000 800A1F0D
	buffer_load_dword v32, v14, s[40:43], 0 offen              // 000000003750: E0501000 800A200E
	buffer_load_dwordx4 v35, s[20:23], 0 offen lds             // 000000003758: E05D1000 80050023
	s_add_u32 m0, 0x1080, s48                                  // 000000003760: 807C30FF 00001080
	buffer_load_dwordx4 v36, s[20:23], 0 offen lds             // 000000003768: E05D1000 80050024
	s_add_u32 m0, m0, s72                                      // 000000003770: 807C487C
	buffer_load_dword v9, s[28:31], 0 offen lds                // 000000003774: E0511000 80070009
	s_add_u32 m0, 0, s49                                       // 00000000377C: 807C3180
	s_add_u32 s20, s53, s20                                    // 000000003780: 80141435
	s_addc_u32 s21, 0, s21                                     // 000000003784: 82151580
	s_add_u32 s28, s3, s28                                     // 000000003788: 801C1C03
	s_addc_u32 s29, 0, s29                                     // 00000000378C: 821D1D80
	buffer_load_dwordx4 a[0:3], v39, s[24:27], 0 offen         // 000000003790: E05C1000 80860027
	buffer_load_dwordx4 a[4:7], v39, s[24:27], 0 offen offset:1024// 000000003798: E05C1400 80860427
	buffer_load_dwordx4 a[8:11], v40, s[24:27], 0 offen        // 0000000037A0: E05C1000 80860828
	buffer_load_dwordx4 a[12:15], v40, s[24:27], 0 offen offset:1024// 0000000037A8: E05C1400 80860C28
	buffer_load_dwordx4 a[16:19], v41, s[24:27], 0 offen       // 0000000037B0: E05C1000 80861029
	buffer_load_dwordx4 a[20:23], v41, s[24:27], 0 offen offset:1024// 0000000037B8: E05C1400 80861429
	buffer_load_dwordx4 a[24:27], v42, s[24:27], 0 offen       // 0000000037C0: E05C1000 8086182A
	buffer_load_dwordx4 a[28:31], v42, s[24:27], 0 offen offset:1024// 0000000037C8: E05C1400 80861C2A
	buffer_load_dwordx4 a[32:35], v39, s[24:27], 0 offen offset:2048// 0000000037D0: E05C1800 80862027
	buffer_load_dwordx4 a[36:39], v39, s[24:27], 0 offen offset:3072// 0000000037D8: E05C1C00 80862427
	buffer_load_dwordx4 a[40:43], v40, s[24:27], 0 offen offset:2048// 0000000037E0: E05C1800 80862828
	buffer_load_dwordx4 a[44:47], v40, s[24:27], 0 offen offset:3072// 0000000037E8: E05C1C00 80862C28
	buffer_load_dwordx4 a[48:51], v41, s[24:27], 0 offen offset:2048// 0000000037F0: E05C1800 80863029
	buffer_load_dwordx4 a[52:55], v41, s[24:27], 0 offen offset:3072// 0000000037F8: E05C1C00 80863429
	buffer_load_dwordx4 a[56:59], v42, s[24:27], 0 offen offset:2048// 000000003800: E05C1800 8086382A
	buffer_load_dwordx4 a[60:63], v42, s[24:27], 0 offen offset:3072// 000000003808: E05C1C00 80863C2A
	s_add_u32 s24, s54, s24                                    // 000000003810: 80181836
	s_addc_u32 s25, 0, s25                                     // 000000003814: 82191980
	v_mov_b32_e32 v64, 0                                       // 000000003818: 7E800280
	v_mov_b32_e32 v96, 0                                       // 00000000381C: 7EC00280
	v_mov_b32_e32 v65, 0                                       // 000000003820: 7E820280
	v_mov_b32_e32 v97, 0                                       // 000000003824: 7EC20280
	v_mov_b32_e32 v66, 0                                       // 000000003828: 7E840280
	v_mov_b32_e32 v98, 0                                       // 00000000382C: 7EC40280
	v_mov_b32_e32 v67, 0                                       // 000000003830: 7E860280
	v_mov_b32_e32 v99, 0                                       // 000000003834: 7EC60280
	v_mov_b32_e32 v68, 0                                       // 000000003838: 7E880280
	v_mov_b32_e32 v100, 0                                      // 00000000383C: 7EC80280
	v_mov_b32_e32 v69, 0                                       // 000000003840: 7E8A0280
	v_mov_b32_e32 v101, 0                                      // 000000003844: 7ECA0280
	v_mov_b32_e32 v70, 0                                       // 000000003848: 7E8C0280
	v_mov_b32_e32 v102, 0                                      // 00000000384C: 7ECC0280
	v_mov_b32_e32 v71, 0                                       // 000000003850: 7E8E0280
	v_mov_b32_e32 v103, 0                                      // 000000003854: 7ECE0280
	v_mov_b32_e32 v72, 0                                       // 000000003858: 7E900280
	v_mov_b32_e32 v104, 0                                      // 00000000385C: 7ED00280
	v_mov_b32_e32 v73, 0                                       // 000000003860: 7E920280
	v_mov_b32_e32 v105, 0                                      // 000000003864: 7ED20280
	v_mov_b32_e32 v74, 0                                       // 000000003868: 7E940280
	v_mov_b32_e32 v106, 0                                      // 00000000386C: 7ED40280
	v_mov_b32_e32 v75, 0                                       // 000000003870: 7E960280
	v_mov_b32_e32 v107, 0                                      // 000000003874: 7ED60280
	v_mov_b32_e32 v76, 0                                       // 000000003878: 7E980280
	v_mov_b32_e32 v108, 0                                      // 00000000387C: 7ED80280
	v_mov_b32_e32 v77, 0                                       // 000000003880: 7E9A0280
	v_mov_b32_e32 v109, 0                                      // 000000003884: 7EDA0280
	v_mov_b32_e32 v78, 0                                       // 000000003888: 7E9C0280
	v_mov_b32_e32 v110, 0                                      // 00000000388C: 7EDC0280
	v_mov_b32_e32 v79, 0                                       // 000000003890: 7E9E0280
	v_mov_b32_e32 v111, 0                                      // 000000003894: 7EDE0280
	v_mov_b32_e32 v80, 0                                       // 000000003898: 7EA00280
	v_mov_b32_e32 v112, 0                                      // 00000000389C: 7EE00280
	v_mov_b32_e32 v81, 0                                       // 0000000038A0: 7EA20280
	v_mov_b32_e32 v113, 0                                      // 0000000038A4: 7EE20280
	v_mov_b32_e32 v82, 0                                       // 0000000038A8: 7EA40280
	v_mov_b32_e32 v114, 0                                      // 0000000038AC: 7EE40280
	v_mov_b32_e32 v83, 0                                       // 0000000038B0: 7EA60280
	v_mov_b32_e32 v115, 0                                      // 0000000038B4: 7EE60280
	v_mov_b32_e32 v84, 0                                       // 0000000038B8: 7EA80280
	v_mov_b32_e32 v116, 0                                      // 0000000038BC: 7EE80280
	v_mov_b32_e32 v85, 0                                       // 0000000038C0: 7EAA0280
	v_mov_b32_e32 v117, 0                                      // 0000000038C4: 7EEA0280
	v_mov_b32_e32 v86, 0                                       // 0000000038C8: 7EAC0280
	v_mov_b32_e32 v118, 0                                      // 0000000038CC: 7EEC0280
	v_mov_b32_e32 v87, 0                                       // 0000000038D0: 7EAE0280
	v_mov_b32_e32 v119, 0                                      // 0000000038D4: 7EEE0280
	v_mov_b32_e32 v88, 0                                       // 0000000038D8: 7EB00280
	v_mov_b32_e32 v120, 0                                      // 0000000038DC: 7EF00280
	v_mov_b32_e32 v89, 0                                       // 0000000038E0: 7EB20280
	v_mov_b32_e32 v121, 0                                      // 0000000038E4: 7EF20280
	v_mov_b32_e32 v90, 0                                       // 0000000038E8: 7EB40280
	v_mov_b32_e32 v122, 0                                      // 0000000038EC: 7EF40280
	v_mov_b32_e32 v91, 0                                       // 0000000038F0: 7EB60280
	v_mov_b32_e32 v123, 0                                      // 0000000038F4: 7EF60280
	v_mov_b32_e32 v92, 0                                       // 0000000038F8: 7EB80280
	v_mov_b32_e32 v124, 0                                      // 0000000038FC: 7EF80280
	v_mov_b32_e32 v93, 0                                       // 000000003900: 7EBA0280
	v_mov_b32_e32 v125, 0                                      // 000000003904: 7EFA0280
	v_mov_b32_e32 v94, 0                                       // 000000003908: 7EBC0280
	v_mov_b32_e32 v126, 0                                      // 00000000390C: 7EFC0280
	v_mov_b32_e32 v95, 0                                       // 000000003910: 7EBE0280
	v_mov_b32_e32 v127, 0                                      // 000000003914: 7EFE0280
	v_mov_b32_e32 v96, 0                                       // 000000003918: 7EC00280
	v_mov_b32_e32 v128, 0                                      // 00000000391C: 7F000280
	v_mov_b32_e32 v97, 0                                       // 000000003920: 7EC20280
	v_mov_b32_e32 v129, 0                                      // 000000003924: 7F020280
	v_mov_b32_e32 v98, 0                                       // 000000003928: 7EC40280
	v_mov_b32_e32 v130, 0                                      // 00000000392C: 7F040280
	v_mov_b32_e32 v99, 0                                       // 000000003930: 7EC60280
	v_mov_b32_e32 v131, 0                                      // 000000003934: 7F060280
	v_mov_b32_e32 v100, 0                                      // 000000003938: 7EC80280
	v_mov_b32_e32 v132, 0                                      // 00000000393C: 7F080280
	v_mov_b32_e32 v101, 0                                      // 000000003940: 7ECA0280
	v_mov_b32_e32 v133, 0                                      // 000000003944: 7F0A0280
	v_mov_b32_e32 v102, 0                                      // 000000003948: 7ECC0280
	v_mov_b32_e32 v134, 0                                      // 00000000394C: 7F0C0280
	v_mov_b32_e32 v103, 0                                      // 000000003950: 7ECE0280
	v_mov_b32_e32 v135, 0                                      // 000000003954: 7F0E0280
	v_mov_b32_e32 v104, 0                                      // 000000003958: 7ED00280
	v_mov_b32_e32 v136, 0                                      // 00000000395C: 7F100280
	v_mov_b32_e32 v105, 0                                      // 000000003960: 7ED20280
	v_mov_b32_e32 v137, 0                                      // 000000003964: 7F120280
	v_mov_b32_e32 v106, 0                                      // 000000003968: 7ED40280
	v_mov_b32_e32 v138, 0                                      // 00000000396C: 7F140280
	v_mov_b32_e32 v107, 0                                      // 000000003970: 7ED60280
	v_mov_b32_e32 v139, 0                                      // 000000003974: 7F160280
	v_mov_b32_e32 v108, 0                                      // 000000003978: 7ED80280
	v_mov_b32_e32 v140, 0                                      // 00000000397C: 7F180280
	v_mov_b32_e32 v109, 0                                      // 000000003980: 7EDA0280
	v_mov_b32_e32 v141, 0                                      // 000000003984: 7F1A0280
	v_mov_b32_e32 v110, 0                                      // 000000003988: 7EDC0280
	v_mov_b32_e32 v142, 0                                      // 00000000398C: 7F1C0280
	v_mov_b32_e32 v111, 0                                      // 000000003990: 7EDE0280
	v_mov_b32_e32 v143, 0                                      // 000000003994: 7F1E0280
	v_mov_b32_e32 v112, 0                                      // 000000003998: 7EE00280
	v_mov_b32_e32 v144, 0                                      // 00000000399C: 7F200280
	v_mov_b32_e32 v113, 0                                      // 0000000039A0: 7EE20280
	v_mov_b32_e32 v145, 0                                      // 0000000039A4: 7F220280
	v_mov_b32_e32 v114, 0                                      // 0000000039A8: 7EE40280
	v_mov_b32_e32 v146, 0                                      // 0000000039AC: 7F240280
	v_mov_b32_e32 v115, 0                                      // 0000000039B0: 7EE60280
	v_mov_b32_e32 v147, 0                                      // 0000000039B4: 7F260280
	v_mov_b32_e32 v116, 0                                      // 0000000039B8: 7EE80280
	v_mov_b32_e32 v148, 0                                      // 0000000039BC: 7F280280
	v_mov_b32_e32 v117, 0                                      // 0000000039C0: 7EEA0280
	v_mov_b32_e32 v149, 0                                      // 0000000039C4: 7F2A0280
	v_mov_b32_e32 v118, 0                                      // 0000000039C8: 7EEC0280
	v_mov_b32_e32 v150, 0                                      // 0000000039CC: 7F2C0280
	v_mov_b32_e32 v119, 0                                      // 0000000039D0: 7EEE0280
	v_mov_b32_e32 v151, 0                                      // 0000000039D4: 7F2E0280
	v_mov_b32_e32 v120, 0                                      // 0000000039D8: 7EF00280
	v_mov_b32_e32 v152, 0                                      // 0000000039DC: 7F300280
	v_mov_b32_e32 v121, 0                                      // 0000000039E0: 7EF20280
	v_mov_b32_e32 v153, 0                                      // 0000000039E4: 7F320280
	v_mov_b32_e32 v122, 0                                      // 0000000039E8: 7EF40280
	v_mov_b32_e32 v154, 0                                      // 0000000039EC: 7F340280
	v_mov_b32_e32 v123, 0                                      // 0000000039F0: 7EF60280
	v_mov_b32_e32 v155, 0                                      // 0000000039F4: 7F360280
	v_mov_b32_e32 v124, 0                                      // 0000000039F8: 7EF80280
	v_mov_b32_e32 v156, 0                                      // 0000000039FC: 7F380280
	v_mov_b32_e32 v125, 0                                      // 000000003A00: 7EFA0280
	v_mov_b32_e32 v157, 0                                      // 000000003A04: 7F3A0280
	v_mov_b32_e32 v126, 0                                      // 000000003A08: 7EFC0280
	v_mov_b32_e32 v158, 0                                      // 000000003A0C: 7F3C0280
	v_mov_b32_e32 v127, 0                                      // 000000003A10: 7EFE0280
	v_mov_b32_e32 v159, 0                                      // 000000003A14: 7F3E0280
	v_lshrrev_b32_e32 v52, 4, v0                               // 000000003A18: 20680084
	v_mul_lo_u32 v4, 34, v52                                   // 000000003A1C: D2850004 000268A2
	v_and_b32_e32 v52, 15, v0                                  // 000000003A24: 2668008F
	v_mul_lo_u32 v53, 2, v52                                   // 000000003A28: D2850035 00026882
	v_add_u32_e32 v4, v53, v4                                  // 000000003A30: 68080935
	s_mul_i32 s56, s7, 0x88                                    // 000000003A34: 9238FF07 00000088
	v_add_u32_e32 v4, s56, v4                                  // 000000003A3C: 68080838
	v_lshlrev_b32_e32 v4, 2, v4                                // 000000003A40: 24080882
	v_lshrrev_b32_e32 v52, 1, v0                               // 000000003A44: 20680081
	v_mul_lo_u32 v6, 34, v52                                   // 000000003A48: D2850006 000268A2
	v_and_b32_e32 v53, 1, v0                                   // 000000003A50: 266A0081
	v_add_u32_e32 v6, v53, v6                                  // 000000003A54: 680C0D35
	s_mov_b32 s56, 0                                           // 000000003A58: BEB80080
	s_lshr_b32 s57, s7, 1                                      // 000000003A5C: 8F398107
	s_mul_i32 s57, s57, 8                                      // 000000003A60: 92398839
	s_add_u32 s56, s57, s56                                    // 000000003A64: 80383839
	s_and_b32 s57, s7, 1                                       // 000000003A68: 86398107
	s_mul_i32 s57, s57, 2                                      // 000000003A6C: 92398239
	s_add_u32 s56, s57, s56                                    // 000000003A70: 80383839
	s_mul_i32 s56, 2, s56                                      // 000000003A74: 92383882
	v_add_u32_e32 v6, s56, v6                                  // 000000003A78: 680C0C38
	v_lshlrev_b32_e32 v6, 2, v6                                // 000000003A7C: 240C0C82
	s_waitcnt vmcnt(16)                                        // 000000003A80: BF8C4F70
	s_barrier                                                  // 000000003A84: BF8A0000
	ds_read_b128 a[128:131], v2                                // 000000003A88: DBFE0000 80000002
	ds_read_b128 a[132:135], v2 offset:64                      // 000000003A90: DBFE0040 84000002
	ds_read_b128 a[136:139], v2 offset:4224                    // 000000003A98: DBFE1080 88000002
	ds_read_b128 a[140:143], v2 offset:4288                    // 000000003AA0: DBFE10C0 8C000002
	ds_read_b128 a[144:147], v2 offset:512                     // 000000003AA8: DBFE0200 90000002
	ds_read_b128 a[148:151], v2 offset:576                     // 000000003AB0: DBFE0240 94000002
	ds_read_b128 a[152:155], v2 offset:4736                    // 000000003AB8: DBFE1280 98000002
	ds_read_b128 a[156:159], v2 offset:4800                    // 000000003AC0: DBFE12C0 9C000002
	ds_read_b32 v21, v3 offset:8448                            // 000000003AC8: D86C2100 15000003
	ds_read_b32 v22, v3 offset:8704                            // 000000003AD0: D86C2200 16000003
	ds_read_b32 v23, v3 offset:8960                            // 000000003AD8: D86C2300 17000003
	ds_read_b32 v24, v3 offset:9216                            // 000000003AE0: D86C2400 18000003
	s_cmp_lt_i32 s7, 2                                         // 000000003AE8: BF048207
	s_cbranch_scc0 label_0C61                                  // 000000003AEC: BF840925

0000000000003af0 <label_033C>:
	s_waitcnt vmcnt(12) lgkmcnt(0)                             // 000000003AF0: BF8C007C
	s_barrier                                                  // 000000003AF4: BF8A0000
	v_mfma_f32_16x16x128_f8f6f4 v[128:131], a[0:7], a[128:135], 0// 000000003AF8: D3AD0080 1A030100
	v_mfma_f32_16x16x128_f8f6f4 v[132:135], a[0:7], a[144:151], 0// 000000003B00: D3AD0084 1A032100
	buffer_load_dwordx4 v35, s[20:23], 0 offen lds             // 000000003B08: E05D1000 80050023
	s_add_u32 m0, 0x1080, s49                                  // 000000003B10: 807C31FF 00001080
	buffer_load_dwordx4 v36, s[20:23], 0 offen lds             // 000000003B18: E05D1000 80050024
	s_add_u32 m0, m0, s72                                      // 000000003B20: 807C487C
	buffer_load_dword v9, s[28:31], 0 offen lds                // 000000003B24: E0511000 80070009
	s_add_u32 m0, 0, s48                                       // 000000003B2C: 807C3080
	buffer_load_dword v30, v19, s[32:35], 0 offen              // 000000003B30: E0501000 80081E13
	buffer_load_dwordx4 a[64:67], v39, s[96:99], 0 offen       // 000000003B38: E05C1000 80984027
	buffer_load_dwordx4 a[68:71], v39, s[96:99], 0 offen offset:1024// 000000003B40: E05C1400 80984427
	v_mfma_f32_16x16x128_f8f6f4 v[136:139], a[8:15], a[128:135], 0// 000000003B48: D3AD0088 1A030108
	v_mfma_f32_16x16x128_f8f6f4 v[140:143], a[8:15], a[144:151], 0// 000000003B50: D3AD008C 1A032108
	buffer_load_dwordx4 a[72:75], v40, s[96:99], 0 offen       // 000000003B58: E05C1000 80984828
	buffer_load_dwordx4 a[76:79], v40, s[96:99], 0 offen offset:1024// 000000003B60: E05C1400 80984C28
	s_waitcnt vmcnt(16)                                        // 000000003B68: BF8C4F70
	v_mfma_f32_16x16x128_f8f6f4 v[144:147], a[16:23], a[128:135], 0// 000000003B6C: D3AD0090 1A030110
	v_mfma_f32_16x16x128_f8f6f4 v[148:151], a[16:23], a[144:151], 0// 000000003B74: D3AD0094 1A032110
	buffer_load_dwordx4 a[80:83], v41, s[96:99], 0 offen       // 000000003B7C: E05C1000 80985029
	buffer_load_dwordx4 a[84:87], v41, s[96:99], 0 offen offset:1024// 000000003B84: E05C1400 80985429
	v_mfma_f32_16x16x128_f8f6f4 v[152:155], a[24:31], a[128:135], 0// 000000003B8C: D3AD0098 1A030118
	v_mfma_f32_16x16x128_f8f6f4 v[156:159], a[24:31], a[144:151], 0// 000000003B94: D3AD009C 1A032118
	buffer_load_dwordx4 a[88:91], v42, s[96:99], 0 offen       // 000000003B9C: E05C1000 8098582A
	buffer_load_dwordx4 a[92:95], v42, s[96:99], 0 offen offset:1024// 000000003BA4: E05C1400 80985C2A
	v_mul_f32_dpp v52, v29, v21 row_newbcast:0 row_mask:0xf bank_mask:0xf// 000000003BAC: 0A682AFA FF01501D
	v_mov_b32_e32 v53, v52                                     // 000000003BB4: 7E6A0334
	v_pk_fma_f32 v[64:65], v[128:129], v[52:53], v[64:65]      // 000000003BB8: D3B04040 1D026980
	v_pk_fma_f32 v[66:67], v[130:131], v[52:53], v[66:67]      // 000000003BC0: D3B04042 1D0A6982
	v_pk_fma_f32 v[72:73], v[136:137], v[52:53], v[72:73]      // 000000003BC8: D3B04048 1D226988
	v_pk_fma_f32 v[74:75], v[138:139], v[52:53], v[74:75]      // 000000003BD0: D3B0404A 1D2A698A
	v_mul_f32_dpp v52, v29, v21 row_newbcast:1 row_mask:0xf bank_mask:0xf// 000000003BD8: 0A682AFA FF01511D
	v_mov_b32_e32 v53, v52                                     // 000000003BE0: 7E6A0334
	v_pk_fma_f32 v[80:81], v[144:145], v[52:53], v[80:81]      // 000000003BE4: D3B04050 1D426990
	v_pk_fma_f32 v[82:83], v[146:147], v[52:53], v[82:83]      // 000000003BEC: D3B04052 1D4A6992
	v_pk_fma_f32 v[88:89], v[152:153], v[52:53], v[88:89]      // 000000003BF4: D3B04058 1D626998
	v_pk_fma_f32 v[90:91], v[154:155], v[52:53], v[90:91]      // 000000003BFC: D3B0405A 1D6A699A
	v_mul_f32_dpp v52, v29, v22 row_newbcast:0 row_mask:0xf bank_mask:0xf// 000000003C04: 0A682CFA FF01501D
	v_mov_b32_e32 v53, v52                                     // 000000003C0C: 7E6A0334
	v_pk_fma_f32 v[68:69], v[132:133], v[52:53], v[68:69]      // 000000003C10: D3B04044 1D126984
	v_pk_fma_f32 v[70:71], v[134:135], v[52:53], v[70:71]      // 000000003C18: D3B04046 1D1A6986
	v_pk_fma_f32 v[76:77], v[140:141], v[52:53], v[76:77]      // 000000003C20: D3B0404C 1D32698C
	v_pk_fma_f32 v[78:79], v[142:143], v[52:53], v[78:79]      // 000000003C28: D3B0404E 1D3A698E
	v_mul_f32_dpp v52, v29, v22 row_newbcast:1 row_mask:0xf bank_mask:0xf// 000000003C30: 0A682CFA FF01511D
	v_mov_b32_e32 v53, v52                                     // 000000003C38: 7E6A0334
	v_pk_fma_f32 v[84:85], v[148:149], v[52:53], v[84:85]      // 000000003C3C: D3B04054 1D526994
	v_pk_fma_f32 v[86:87], v[150:151], v[52:53], v[86:87]      // 000000003C44: D3B04056 1D5A6996
	v_pk_fma_f32 v[92:93], v[156:157], v[52:53], v[92:93]      // 000000003C4C: D3B0405C 1D72699C
	v_pk_fma_f32 v[94:95], v[158:159], v[52:53], v[94:95]      // 000000003C54: D3B0405E 1D7A699E
	s_waitcnt vmcnt(16)                                        // 000000003C5C: BF8C4F70
	v_mfma_f32_16x16x128_f8f6f4 v[128:131], a[32:39], a[136:143], 0// 000000003C60: D3AD0080 1A031120
	v_mfma_f32_16x16x128_f8f6f4 v[132:135], a[32:39], a[152:159], 0// 000000003C68: D3AD0084 1A033120
	buffer_load_dwordx4 a[96:99], v39, s[96:99], 0 offen offset:2048// 000000003C70: E05C1800 80986027
	buffer_load_dwordx4 a[100:103], v39, s[96:99], 0 offen offset:3072// 000000003C78: E05C1C00 80986427
	v_mfma_f32_16x16x128_f8f6f4 v[136:139], a[40:47], a[136:143], 0// 000000003C80: D3AD0088 1A031128
	v_mfma_f32_16x16x128_f8f6f4 v[140:143], a[40:47], a[152:159], 0// 000000003C88: D3AD008C 1A033128
	buffer_load_dwordx4 a[104:107], v40, s[96:99], 0 offen offset:2048// 000000003C90: E05C1800 80986828
	buffer_load_dwordx4 a[108:111], v40, s[96:99], 0 offen offset:3072// 000000003C98: E05C1C00 80986C28
	s_waitcnt vmcnt(16)                                        // 000000003CA0: BF8C4F70
	v_mfma_f32_16x16x128_f8f6f4 v[144:147], a[48:55], a[136:143], 0// 000000003CA4: D3AD0090 1A031130
	v_mfma_f32_16x16x128_f8f6f4 v[148:151], a[48:55], a[152:159], 0// 000000003CAC: D3AD0094 1A033130
	buffer_load_dwordx4 a[112:115], v41, s[96:99], 0 offen offset:2048// 000000003CB4: E05C1800 80987029
	buffer_load_dwordx4 a[116:119], v41, s[96:99], 0 offen offset:3072// 000000003CBC: E05C1C00 80987429
	v_mfma_f32_16x16x128_f8f6f4 v[152:155], a[56:63], a[136:143], 0// 000000003CC4: D3AD0098 1A031138
	v_mfma_f32_16x16x128_f8f6f4 v[156:159], a[56:63], a[152:159], 0// 000000003CCC: D3AD009C 1A033138
	buffer_load_dwordx4 a[120:123], v42, s[96:99], 0 offen offset:2048// 000000003CD4: E05C1800 8098782A
	buffer_load_dwordx4 a[124:127], v42, s[96:99], 0 offen offset:3072// 000000003CDC: E05C1C00 80987C2A
	v_mul_f32_dpp v52, v29, v23 row_newbcast:2 row_mask:0xf bank_mask:0xf// 000000003CE4: 0A682EFA FF01521D
	v_mov_b32_e32 v53, v52                                     // 000000003CEC: 7E6A0334
	v_pk_fma_f32 v[64:65], v[128:129], v[52:53], v[64:65]      // 000000003CF0: D3B04040 1D026980
	v_pk_fma_f32 v[66:67], v[130:131], v[52:53], v[66:67]      // 000000003CF8: D3B04042 1D0A6982
	v_pk_fma_f32 v[72:73], v[136:137], v[52:53], v[72:73]      // 000000003D00: D3B04048 1D226988
	v_pk_fma_f32 v[74:75], v[138:139], v[52:53], v[74:75]      // 000000003D08: D3B0404A 1D2A698A
	v_mul_f32_dpp v52, v29, v23 row_newbcast:3 row_mask:0xf bank_mask:0xf// 000000003D10: 0A682EFA FF01531D
	v_mov_b32_e32 v53, v52                                     // 000000003D18: 7E6A0334
	v_pk_fma_f32 v[80:81], v[144:145], v[52:53], v[80:81]      // 000000003D1C: D3B04050 1D426990
	v_pk_fma_f32 v[82:83], v[146:147], v[52:53], v[82:83]      // 000000003D24: D3B04052 1D4A6992
	v_pk_fma_f32 v[88:89], v[152:153], v[52:53], v[88:89]      // 000000003D2C: D3B04058 1D626998
	v_pk_fma_f32 v[90:91], v[154:155], v[52:53], v[90:91]      // 000000003D34: D3B0405A 1D6A699A
	v_mul_f32_dpp v52, v29, v24 row_newbcast:2 row_mask:0xf bank_mask:0xf// 000000003D3C: 0A6830FA FF01521D
	v_mov_b32_e32 v53, v52                                     // 000000003D44: 7E6A0334
	v_pk_fma_f32 v[68:69], v[132:133], v[52:53], v[68:69]      // 000000003D48: D3B04044 1D126984
	v_pk_fma_f32 v[70:71], v[134:135], v[52:53], v[70:71]      // 000000003D50: D3B04046 1D1A6986
	v_pk_fma_f32 v[76:77], v[140:141], v[52:53], v[76:77]      // 000000003D58: D3B0404C 1D32698C
	v_pk_fma_f32 v[78:79], v[142:143], v[52:53], v[78:79]      // 000000003D60: D3B0404E 1D3A698E
	v_mul_f32_dpp v52, v29, v24 row_newbcast:3 row_mask:0xf bank_mask:0xf// 000000003D68: 0A6830FA FF01531D
	v_mov_b32_e32 v53, v52                                     // 000000003D70: 7E6A0334
	v_pk_fma_f32 v[84:85], v[148:149], v[52:53], v[84:85]      // 000000003D74: D3B04054 1D526994
	v_pk_fma_f32 v[86:87], v[150:151], v[52:53], v[86:87]      // 000000003D7C: D3B04056 1D5A6996
	v_pk_fma_f32 v[92:93], v[156:157], v[52:53], v[92:93]      // 000000003D84: D3B0405C 1D72699C
	v_pk_fma_f32 v[94:95], v[158:159], v[52:53], v[94:95]      // 000000003D8C: D3B0405E 1D7A699E
	s_add_u32 s56, 0x100, s76                                  // 000000003D94: 80384CFF 00000100
	s_cmp_lt_u32 s56, s77                                      // 000000003D9C: BF0A4D38
	s_cselect_b32 s4, s4, 0                                    // 000000003DA0: 85048004
	s_add_u32 s32, s4, s32                                     // 000000003DA4: 80202004
	s_addc_u32 s33, 0, s33                                     // 000000003DA8: 82212180
	s_waitcnt vmcnt(12)                                        // 000000003DAC: BF8C0F7C
	s_barrier                                                  // 000000003DB0: BF8A0000
	v_mfma_f32_16x16x128_f8f6f4 v[128:131], a[64:71], a[128:135], 0// 000000003DB4: D3AD0080 1A030140
	v_mfma_f32_16x16x128_f8f6f4 v[132:135], a[64:71], a[144:151], 0// 000000003DBC: D3AD0084 1A032140
	buffer_load_dword v29, v17, s[32:35], 0 offen              // 000000003DC4: E0501000 80081D11
	buffer_load_dwordx4 a[0:3], v39, s[24:27], 0 offen         // 000000003DCC: E05C1000 80860027
	buffer_load_dwordx4 a[4:7], v39, s[24:27], 0 offen offset:1024// 000000003DD4: E05C1400 80860427
	v_mfma_f32_16x16x128_f8f6f4 v[136:139], a[72:79], a[128:135], 0// 000000003DDC: D3AD0088 1A030148
	v_mfma_f32_16x16x128_f8f6f4 v[140:143], a[72:79], a[144:151], 0// 000000003DE4: D3AD008C 1A032148
	buffer_load_dwordx4 a[8:11], v40, s[24:27], 0 offen        // 000000003DEC: E05C1000 80860828
	buffer_load_dwordx4 a[12:15], v40, s[24:27], 0 offen offset:1024// 000000003DF4: E05C1400 80860C28
	s_waitcnt vmcnt(13)                                        // 000000003DFC: BF8C0F7D
	v_mfma_f32_16x16x128_f8f6f4 v[144:147], a[80:87], a[128:135], 0// 000000003E00: D3AD0090 1A030150
	v_mfma_f32_16x16x128_f8f6f4 v[148:151], a[80:87], a[144:151], 0// 000000003E08: D3AD0094 1A032150
	buffer_load_dwordx4 a[16:19], v41, s[24:27], 0 offen       // 000000003E10: E05C1000 80861029
	buffer_load_dwordx4 a[20:23], v41, s[24:27], 0 offen offset:1024// 000000003E18: E05C1400 80861429
	v_mfma_f32_16x16x128_f8f6f4 v[152:155], a[88:95], a[128:135], 0// 000000003E20: D3AD0098 1A030158
	v_mfma_f32_16x16x128_f8f6f4 v[156:159], a[88:95], a[144:151], 0// 000000003E28: D3AD009C 1A032158
	buffer_load_dwordx4 a[24:27], v42, s[24:27], 0 offen       // 000000003E30: E05C1000 8086182A
	buffer_load_dwordx4 a[28:31], v42, s[24:27], 0 offen offset:1024// 000000003E38: E05C1400 80861C2A
	v_mul_f32_dpp v52, v30, v21 row_newbcast:0 row_mask:0xf bank_mask:0xf// 000000003E40: 0A682AFA FF01501E
	v_mov_b32_e32 v53, v52                                     // 000000003E48: 7E6A0334
	v_pk_fma_f32 v[96:97], v[128:129], v[52:53], v[96:97]      // 000000003E4C: D3B04060 1D826980
	v_pk_fma_f32 v[98:99], v[130:131], v[52:53], v[98:99]      // 000000003E54: D3B04062 1D8A6982
	v_pk_fma_f32 v[104:105], v[136:137], v[52:53], v[104:105]  // 000000003E5C: D3B04068 1DA26988
	v_pk_fma_f32 v[106:107], v[138:139], v[52:53], v[106:107]  // 000000003E64: D3B0406A 1DAA698A
	v_mul_f32_dpp v52, v30, v21 row_newbcast:1 row_mask:0xf bank_mask:0xf// 000000003E6C: 0A682AFA FF01511E
	v_mov_b32_e32 v53, v52                                     // 000000003E74: 7E6A0334
	v_pk_fma_f32 v[112:113], v[144:145], v[52:53], v[112:113]  // 000000003E78: D3B04070 1DC26990
	v_pk_fma_f32 v[114:115], v[146:147], v[52:53], v[114:115]  // 000000003E80: D3B04072 1DCA6992
	v_pk_fma_f32 v[120:121], v[152:153], v[52:53], v[120:121]  // 000000003E88: D3B04078 1DE26998
	v_pk_fma_f32 v[122:123], v[154:155], v[52:53], v[122:123]  // 000000003E90: D3B0407A 1DEA699A
	v_mul_f32_dpp v52, v30, v22 row_newbcast:0 row_mask:0xf bank_mask:0xf// 000000003E98: 0A682CFA FF01501E
	v_mov_b32_e32 v53, v52                                     // 000000003EA0: 7E6A0334
	v_pk_fma_f32 v[100:101], v[132:133], v[52:53], v[100:101]  // 000000003EA4: D3B04064 1D926984
	v_pk_fma_f32 v[102:103], v[134:135], v[52:53], v[102:103]  // 000000003EAC: D3B04066 1D9A6986
	v_pk_fma_f32 v[108:109], v[140:141], v[52:53], v[108:109]  // 000000003EB4: D3B0406C 1DB2698C
	v_pk_fma_f32 v[110:111], v[142:143], v[52:53], v[110:111]  // 000000003EBC: D3B0406E 1DBA698E
	v_mul_f32_dpp v52, v30, v22 row_newbcast:1 row_mask:0xf bank_mask:0xf// 000000003EC4: 0A682CFA FF01511E
	v_mov_b32_e32 v53, v52                                     // 000000003ECC: 7E6A0334
	v_pk_fma_f32 v[116:117], v[148:149], v[52:53], v[116:117]  // 000000003ED0: D3B04074 1DD26994
	v_pk_fma_f32 v[118:119], v[150:151], v[52:53], v[118:119]  // 000000003ED8: D3B04076 1DDA6996
	v_pk_fma_f32 v[124:125], v[156:157], v[52:53], v[124:125]  // 000000003EE0: D3B0407C 1DF2699C
	v_pk_fma_f32 v[126:127], v[158:159], v[52:53], v[126:127]  // 000000003EE8: D3B0407E 1DFA699E
	s_waitcnt vmcnt(13)                                        // 000000003EF0: BF8C0F7D
	v_mfma_f32_16x16x128_f8f6f4 v[128:131], a[96:103], a[136:143], 0// 000000003EF4: D3AD0080 1A031160
	ds_read_b128 a[160:163], v2 offset:9472                    // 000000003EFC: DBFE2500 A0000002
	ds_read_b128 a[164:167], v2 offset:9536                    // 000000003F04: DBFE2540 A4000002
	ds_read_b32 v25, v3 offset:17920                           // 000000003F0C: D86C4600 19000003
	v_mfma_f32_16x16x128_f8f6f4 v[132:135], a[96:103], a[152:159], 0// 000000003F14: D3AD0084 1A033160
	buffer_load_dwordx4 a[32:35], v39, s[24:27], 0 offen offset:2048// 000000003F1C: E05C1800 80862027
	buffer_load_dwordx4 a[36:39], v39, s[24:27], 0 offen offset:3072// 000000003F24: E05C1C00 80862427
	v_mfma_f32_16x16x128_f8f6f4 v[136:139], a[104:111], a[136:143], 0// 000000003F2C: D3AD0088 1A031168
	ds_read_b128 a[168:171], v2 offset:13696                   // 000000003F34: DBFE3580 A8000002
	ds_read_b128 a[172:175], v2 offset:13760                   // 000000003F3C: DBFE35C0 AC000002
	ds_read_b32 v26, v3 offset:18176                           // 000000003F44: D86C4700 1A000003
	v_mfma_f32_16x16x128_f8f6f4 v[140:143], a[104:111], a[152:159], 0// 000000003F4C: D3AD008C 1A033168
	buffer_load_dwordx4 a[40:43], v40, s[24:27], 0 offen offset:2048// 000000003F54: E05C1800 80862828
	buffer_load_dwordx4 a[44:47], v40, s[24:27], 0 offen offset:3072// 000000003F5C: E05C1C00 80862C28
	s_waitcnt vmcnt(13)                                        // 000000003F64: BF8C0F7D
	v_mfma_f32_16x16x128_f8f6f4 v[144:147], a[112:119], a[136:143], 0// 000000003F68: D3AD0090 1A031170
	ds_read_b128 a[176:179], v2 offset:9984                    // 000000003F70: DBFE2700 B0000002
	ds_read_b128 a[180:183], v2 offset:10048                   // 000000003F78: DBFE2740 B4000002
	ds_read_b32 v27, v3 offset:18432                           // 000000003F80: D86C4800 1B000003
	v_mfma_f32_16x16x128_f8f6f4 v[148:151], a[112:119], a[152:159], 0// 000000003F88: D3AD0094 1A033170
	buffer_load_dwordx4 a[48:51], v41, s[24:27], 0 offen offset:2048// 000000003F90: E05C1800 80863029
	buffer_load_dwordx4 a[52:55], v41, s[24:27], 0 offen offset:3072// 000000003F98: E05C1C00 80863429
	v_mfma_f32_16x16x128_f8f6f4 v[152:155], a[120:127], a[136:143], 0// 000000003FA0: D3AD0098 1A031178
	ds_read_b128 a[184:187], v2 offset:14208                   // 000000003FA8: DBFE3780 B8000002
	ds_read_b128 a[188:191], v2 offset:14272                   // 000000003FB0: DBFE37C0 BC000002
	ds_read_b32 v28, v3 offset:18688                           // 000000003FB8: D86C4900 1C000003
	v_mfma_f32_16x16x128_f8f6f4 v[156:159], a[120:127], a[152:159], 0// 000000003FC0: D3AD009C 1A033178
	buffer_load_dwordx4 a[56:59], v42, s[24:27], 0 offen offset:2048// 000000003FC8: E05C1800 8086382A
	buffer_load_dwordx4 a[60:63], v42, s[24:27], 0 offen offset:3072// 000000003FD0: E05C1C00 80863C2A
	v_mul_f32_dpp v52, v30, v23 row_newbcast:2 row_mask:0xf bank_mask:0xf// 000000003FD8: 0A682EFA FF01521E
	v_mov_b32_e32 v53, v52                                     // 000000003FE0: 7E6A0334
	v_pk_fma_f32 v[96:97], v[128:129], v[52:53], v[96:97]      // 000000003FE4: D3B04060 1D826980
	v_pk_fma_f32 v[98:99], v[130:131], v[52:53], v[98:99]      // 000000003FEC: D3B04062 1D8A6982
	v_pk_fma_f32 v[104:105], v[136:137], v[52:53], v[104:105]  // 000000003FF4: D3B04068 1DA26988
	v_pk_fma_f32 v[106:107], v[138:139], v[52:53], v[106:107]  // 000000003FFC: D3B0406A 1DAA698A
	v_mul_f32_dpp v52, v30, v23 row_newbcast:3 row_mask:0xf bank_mask:0xf// 000000004004: 0A682EFA FF01531E
	v_mov_b32_e32 v53, v52                                     // 00000000400C: 7E6A0334
	v_pk_fma_f32 v[112:113], v[144:145], v[52:53], v[112:113]  // 000000004010: D3B04070 1DC26990
	v_pk_fma_f32 v[114:115], v[146:147], v[52:53], v[114:115]  // 000000004018: D3B04072 1DCA6992
	v_pk_fma_f32 v[120:121], v[152:153], v[52:53], v[120:121]  // 000000004020: D3B04078 1DE26998
	v_pk_fma_f32 v[122:123], v[154:155], v[52:53], v[122:123]  // 000000004028: D3B0407A 1DEA699A
	v_mul_f32_dpp v52, v30, v24 row_newbcast:2 row_mask:0xf bank_mask:0xf// 000000004030: 0A6830FA FF01521E
	v_mov_b32_e32 v53, v52                                     // 000000004038: 7E6A0334
	v_pk_fma_f32 v[100:101], v[132:133], v[52:53], v[100:101]  // 00000000403C: D3B04064 1D926984
	v_pk_fma_f32 v[102:103], v[134:135], v[52:53], v[102:103]  // 000000004044: D3B04066 1D9A6986
	v_pk_fma_f32 v[108:109], v[140:141], v[52:53], v[108:109]  // 00000000404C: D3B0406C 1DB2698C
	v_pk_fma_f32 v[110:111], v[142:143], v[52:53], v[110:111]  // 000000004054: D3B0406E 1DBA698E
	v_mul_f32_dpp v52, v30, v24 row_newbcast:3 row_mask:0xf bank_mask:0xf// 00000000405C: 0A6830FA FF01531E
	v_mov_b32_e32 v53, v52                                     // 000000004064: 7E6A0334
	v_pk_fma_f32 v[116:117], v[148:149], v[52:53], v[116:117]  // 000000004068: D3B04074 1DD26994
	v_pk_fma_f32 v[118:119], v[150:151], v[52:53], v[118:119]  // 000000004070: D3B04076 1DDA6996
	v_pk_fma_f32 v[124:125], v[156:157], v[52:53], v[124:125]  // 000000004078: D3B0407C 1DF2699C
	v_pk_fma_f32 v[126:127], v[158:159], v[52:53], v[126:127]  // 000000004080: D3B0407E 1DFA699E
	s_add_u32 s56, 0x200, s76                                  // 000000004088: 80384CFF 00000200
	s_cmp_lt_u32 s56, s77                                      // 000000004090: BF0A4D38
	s_cselect_b32 s53, s53, 0                                  // 000000004094: 85358035
	s_cselect_b32 s3, s3, 0                                    // 000000004098: 85038003
	s_add_u32 s56, 0x200, s76                                  // 00000000409C: 80384CFF 00000200
	s_cmp_lt_u32 s56, s77                                      // 0000000040A4: BF0A4D38
	s_cselect_b32 s54, s54, 0                                  // 0000000040A8: 85368036
	s_add_u32 s20, s53, s20                                    // 0000000040AC: 80141435
	s_addc_u32 s21, 0, s21                                     // 0000000040B0: 82151580
	s_add_u32 s28, s3, s28                                     // 0000000040B4: 801C1C03
	s_addc_u32 s29, 0, s29                                     // 0000000040B8: 821D1D80
	s_add_u32 s24, s54, s24                                    // 0000000040BC: 80181836
	s_addc_u32 s25, 0, s25                                     // 0000000040C0: 82191980
	s_add_u32 s96, s94, s96                                    // 0000000040C4: 8060605E
	s_addc_u32 s97, 0, s97                                     // 0000000040C8: 82616180
	s_addk_i32 s76, 0x100                                      // 0000000040CC: B74C0100
	s_cmp_lt_i32 s76, s77                                      // 0000000040D0: BF044D4C
	s_cbranch_scc0 label_0631                                  // 0000000040D4: BF84017B
	s_waitcnt vmcnt(12) lgkmcnt(0)                             // 0000000040D8: BF8C007C
	s_barrier                                                  // 0000000040DC: BF8A0000
	v_mfma_f32_16x16x128_f8f6f4 v[128:131], a[0:7], a[160:167], 0// 0000000040E0: D3AD0080 1A034100
	v_mfma_f32_16x16x128_f8f6f4 v[132:135], a[0:7], a[176:183], 0// 0000000040E8: D3AD0084 1A036100
	buffer_load_dwordx4 v35, s[20:23], 0 offen lds             // 0000000040F0: E05D1000 80050023
	s_add_u32 m0, 0x1080, s48                                  // 0000000040F8: 807C30FF 00001080
	buffer_load_dwordx4 v36, s[20:23], 0 offen lds             // 000000004100: E05D1000 80050024
	s_add_u32 m0, m0, s72                                      // 000000004108: 807C487C
	buffer_load_dword v9, s[28:31], 0 offen lds                // 00000000410C: E0511000 80070009
	s_add_u32 m0, 0, s49                                       // 000000004114: 807C3180
	buffer_load_dword v30, v19, s[32:35], 0 offen              // 000000004118: E0501000 80081E13
	buffer_load_dwordx4 a[64:67], v39, s[96:99], 0 offen       // 000000004120: E05C1000 80984027
	buffer_load_dwordx4 a[68:71], v39, s[96:99], 0 offen offset:1024// 000000004128: E05C1400 80984427
	v_mfma_f32_16x16x128_f8f6f4 v[136:139], a[8:15], a[160:167], 0// 000000004130: D3AD0088 1A034108
	v_mfma_f32_16x16x128_f8f6f4 v[140:143], a[8:15], a[176:183], 0// 000000004138: D3AD008C 1A036108
	buffer_load_dwordx4 a[72:75], v40, s[96:99], 0 offen       // 000000004140: E05C1000 80984828
	buffer_load_dwordx4 a[76:79], v40, s[96:99], 0 offen offset:1024// 000000004148: E05C1400 80984C28
	s_waitcnt vmcnt(16)                                        // 000000004150: BF8C4F70
	v_mfma_f32_16x16x128_f8f6f4 v[144:147], a[16:23], a[160:167], 0// 000000004154: D3AD0090 1A034110
	v_mfma_f32_16x16x128_f8f6f4 v[148:151], a[16:23], a[176:183], 0// 00000000415C: D3AD0094 1A036110
	buffer_load_dwordx4 a[80:83], v41, s[96:99], 0 offen       // 000000004164: E05C1000 80985029
	buffer_load_dwordx4 a[84:87], v41, s[96:99], 0 offen offset:1024// 00000000416C: E05C1400 80985429
	v_mfma_f32_16x16x128_f8f6f4 v[152:155], a[24:31], a[160:167], 0// 000000004174: D3AD0098 1A034118
	v_mfma_f32_16x16x128_f8f6f4 v[156:159], a[24:31], a[176:183], 0// 00000000417C: D3AD009C 1A036118
	buffer_load_dwordx4 a[88:91], v42, s[96:99], 0 offen       // 000000004184: E05C1000 8098582A
	buffer_load_dwordx4 a[92:95], v42, s[96:99], 0 offen offset:1024// 00000000418C: E05C1400 80985C2A
	v_mul_f32_dpp v52, v29, v25 row_newbcast:0 row_mask:0xf bank_mask:0xf// 000000004194: 0A6832FA FF01501D
	v_mov_b32_e32 v53, v52                                     // 00000000419C: 7E6A0334
	v_pk_fma_f32 v[64:65], v[128:129], v[52:53], v[64:65]      // 0000000041A0: D3B04040 1D026980
	v_pk_fma_f32 v[66:67], v[130:131], v[52:53], v[66:67]      // 0000000041A8: D3B04042 1D0A6982
	v_pk_fma_f32 v[72:73], v[136:137], v[52:53], v[72:73]      // 0000000041B0: D3B04048 1D226988
	v_pk_fma_f32 v[74:75], v[138:139], v[52:53], v[74:75]      // 0000000041B8: D3B0404A 1D2A698A
	v_mul_f32_dpp v52, v29, v25 row_newbcast:1 row_mask:0xf bank_mask:0xf// 0000000041C0: 0A6832FA FF01511D
	v_mov_b32_e32 v53, v52                                     // 0000000041C8: 7E6A0334
	v_pk_fma_f32 v[80:81], v[144:145], v[52:53], v[80:81]      // 0000000041CC: D3B04050 1D426990
	v_pk_fma_f32 v[82:83], v[146:147], v[52:53], v[82:83]      // 0000000041D4: D3B04052 1D4A6992
	v_pk_fma_f32 v[88:89], v[152:153], v[52:53], v[88:89]      // 0000000041DC: D3B04058 1D626998
	v_pk_fma_f32 v[90:91], v[154:155], v[52:53], v[90:91]      // 0000000041E4: D3B0405A 1D6A699A
	v_mul_f32_dpp v52, v29, v26 row_newbcast:0 row_mask:0xf bank_mask:0xf// 0000000041EC: 0A6834FA FF01501D
	v_mov_b32_e32 v53, v52                                     // 0000000041F4: 7E6A0334
	v_pk_fma_f32 v[68:69], v[132:133], v[52:53], v[68:69]      // 0000000041F8: D3B04044 1D126984
	v_pk_fma_f32 v[70:71], v[134:135], v[52:53], v[70:71]      // 000000004200: D3B04046 1D1A6986
	v_pk_fma_f32 v[76:77], v[140:141], v[52:53], v[76:77]      // 000000004208: D3B0404C 1D32698C
	v_pk_fma_f32 v[78:79], v[142:143], v[52:53], v[78:79]      // 000000004210: D3B0404E 1D3A698E
	v_mul_f32_dpp v52, v29, v26 row_newbcast:1 row_mask:0xf bank_mask:0xf// 000000004218: 0A6834FA FF01511D
	v_mov_b32_e32 v53, v52                                     // 000000004220: 7E6A0334
	v_pk_fma_f32 v[84:85], v[148:149], v[52:53], v[84:85]      // 000000004224: D3B04054 1D526994
	v_pk_fma_f32 v[86:87], v[150:151], v[52:53], v[86:87]      // 00000000422C: D3B04056 1D5A6996
	v_pk_fma_f32 v[92:93], v[156:157], v[52:53], v[92:93]      // 000000004234: D3B0405C 1D72699C
	v_pk_fma_f32 v[94:95], v[158:159], v[52:53], v[94:95]      // 00000000423C: D3B0405E 1D7A699E
	s_waitcnt vmcnt(16)                                        // 000000004244: BF8C4F70
	v_mfma_f32_16x16x128_f8f6f4 v[128:131], a[32:39], a[168:175], 0// 000000004248: D3AD0080 1A035120
	v_mfma_f32_16x16x128_f8f6f4 v[132:135], a[32:39], a[184:191], 0// 000000004250: D3AD0084 1A037120
	buffer_load_dwordx4 a[96:99], v39, s[96:99], 0 offen offset:2048// 000000004258: E05C1800 80986027
	buffer_load_dwordx4 a[100:103], v39, s[96:99], 0 offen offset:3072// 000000004260: E05C1C00 80986427
	v_mfma_f32_16x16x128_f8f6f4 v[136:139], a[40:47], a[168:175], 0// 000000004268: D3AD0088 1A035128
	v_mfma_f32_16x16x128_f8f6f4 v[140:143], a[40:47], a[184:191], 0// 000000004270: D3AD008C 1A037128
	buffer_load_dwordx4 a[104:107], v40, s[96:99], 0 offen offset:2048// 000000004278: E05C1800 80986828
	buffer_load_dwordx4 a[108:111], v40, s[96:99], 0 offen offset:3072// 000000004280: E05C1C00 80986C28
	s_waitcnt vmcnt(16)                                        // 000000004288: BF8C4F70
	v_mfma_f32_16x16x128_f8f6f4 v[144:147], a[48:55], a[168:175], 0// 00000000428C: D3AD0090 1A035130
	v_mfma_f32_16x16x128_f8f6f4 v[148:151], a[48:55], a[184:191], 0// 000000004294: D3AD0094 1A037130
	buffer_load_dwordx4 a[112:115], v41, s[96:99], 0 offen offset:2048// 00000000429C: E05C1800 80987029
	buffer_load_dwordx4 a[116:119], v41, s[96:99], 0 offen offset:3072// 0000000042A4: E05C1C00 80987429
	v_mfma_f32_16x16x128_f8f6f4 v[152:155], a[56:63], a[168:175], 0// 0000000042AC: D3AD0098 1A035138
	v_mfma_f32_16x16x128_f8f6f4 v[156:159], a[56:63], a[184:191], 0// 0000000042B4: D3AD009C 1A037138
	buffer_load_dwordx4 a[120:123], v42, s[96:99], 0 offen offset:2048// 0000000042BC: E05C1800 8098782A
	buffer_load_dwordx4 a[124:127], v42, s[96:99], 0 offen offset:3072// 0000000042C4: E05C1C00 80987C2A
	v_mul_f32_dpp v52, v29, v27 row_newbcast:2 row_mask:0xf bank_mask:0xf// 0000000042CC: 0A6836FA FF01521D
	v_mov_b32_e32 v53, v52                                     // 0000000042D4: 7E6A0334
	v_pk_fma_f32 v[64:65], v[128:129], v[52:53], v[64:65]      // 0000000042D8: D3B04040 1D026980
	v_pk_fma_f32 v[66:67], v[130:131], v[52:53], v[66:67]      // 0000000042E0: D3B04042 1D0A6982
	v_pk_fma_f32 v[72:73], v[136:137], v[52:53], v[72:73]      // 0000000042E8: D3B04048 1D226988
	v_pk_fma_f32 v[74:75], v[138:139], v[52:53], v[74:75]      // 0000000042F0: D3B0404A 1D2A698A
	v_mul_f32_dpp v52, v29, v27 row_newbcast:3 row_mask:0xf bank_mask:0xf// 0000000042F8: 0A6836FA FF01531D
	v_mov_b32_e32 v53, v52                                     // 000000004300: 7E6A0334
	v_pk_fma_f32 v[80:81], v[144:145], v[52:53], v[80:81]      // 000000004304: D3B04050 1D426990
	v_pk_fma_f32 v[82:83], v[146:147], v[52:53], v[82:83]      // 00000000430C: D3B04052 1D4A6992
	v_pk_fma_f32 v[88:89], v[152:153], v[52:53], v[88:89]      // 000000004314: D3B04058 1D626998
	v_pk_fma_f32 v[90:91], v[154:155], v[52:53], v[90:91]      // 00000000431C: D3B0405A 1D6A699A
	v_mul_f32_dpp v52, v29, v28 row_newbcast:2 row_mask:0xf bank_mask:0xf// 000000004324: 0A6838FA FF01521D
	v_mov_b32_e32 v53, v52                                     // 00000000432C: 7E6A0334
	v_pk_fma_f32 v[68:69], v[132:133], v[52:53], v[68:69]      // 000000004330: D3B04044 1D126984
	v_pk_fma_f32 v[70:71], v[134:135], v[52:53], v[70:71]      // 000000004338: D3B04046 1D1A6986
	v_pk_fma_f32 v[76:77], v[140:141], v[52:53], v[76:77]      // 000000004340: D3B0404C 1D32698C
	v_pk_fma_f32 v[78:79], v[142:143], v[52:53], v[78:79]      // 000000004348: D3B0404E 1D3A698E
	v_mul_f32_dpp v52, v29, v28 row_newbcast:3 row_mask:0xf bank_mask:0xf// 000000004350: 0A6838FA FF01531D
	v_mov_b32_e32 v53, v52                                     // 000000004358: 7E6A0334
	v_pk_fma_f32 v[84:85], v[148:149], v[52:53], v[84:85]      // 00000000435C: D3B04054 1D526994
	v_pk_fma_f32 v[86:87], v[150:151], v[52:53], v[86:87]      // 000000004364: D3B04056 1D5A6996
	v_pk_fma_f32 v[92:93], v[156:157], v[52:53], v[92:93]      // 00000000436C: D3B0405C 1D72699C
	v_pk_fma_f32 v[94:95], v[158:159], v[52:53], v[94:95]      // 000000004374: D3B0405E 1D7A699E
	s_add_u32 s56, 0x100, s76                                  // 00000000437C: 80384CFF 00000100
	s_cmp_lt_u32 s56, s77                                      // 000000004384: BF0A4D38
	s_cselect_b32 s4, s4, 0                                    // 000000004388: 85048004
	s_add_u32 s32, s4, s32                                     // 00000000438C: 80202004
	s_addc_u32 s33, 0, s33                                     // 000000004390: 82212180
	s_waitcnt vmcnt(12)                                        // 000000004394: BF8C0F7C
	s_barrier                                                  // 000000004398: BF8A0000
	v_mfma_f32_16x16x128_f8f6f4 v[128:131], a[64:71], a[160:167], 0// 00000000439C: D3AD0080 1A034140
	v_mfma_f32_16x16x128_f8f6f4 v[132:135], a[64:71], a[176:183], 0// 0000000043A4: D3AD0084 1A036140
	buffer_load_dword v29, v17, s[32:35], 0 offen              // 0000000043AC: E0501000 80081D11
	buffer_load_dwordx4 a[0:3], v39, s[24:27], 0 offen         // 0000000043B4: E05C1000 80860027
	buffer_load_dwordx4 a[4:7], v39, s[24:27], 0 offen offset:1024// 0000000043BC: E05C1400 80860427
	v_mfma_f32_16x16x128_f8f6f4 v[136:139], a[72:79], a[160:167], 0// 0000000043C4: D3AD0088 1A034148
	v_mfma_f32_16x16x128_f8f6f4 v[140:143], a[72:79], a[176:183], 0// 0000000043CC: D3AD008C 1A036148
	buffer_load_dwordx4 a[8:11], v40, s[24:27], 0 offen        // 0000000043D4: E05C1000 80860828
	buffer_load_dwordx4 a[12:15], v40, s[24:27], 0 offen offset:1024// 0000000043DC: E05C1400 80860C28
	s_waitcnt vmcnt(13)                                        // 0000000043E4: BF8C0F7D
	v_mfma_f32_16x16x128_f8f6f4 v[144:147], a[80:87], a[160:167], 0// 0000000043E8: D3AD0090 1A034150
	v_mfma_f32_16x16x128_f8f6f4 v[148:151], a[80:87], a[176:183], 0// 0000000043F0: D3AD0094 1A036150
	buffer_load_dwordx4 a[16:19], v41, s[24:27], 0 offen       // 0000000043F8: E05C1000 80861029
	buffer_load_dwordx4 a[20:23], v41, s[24:27], 0 offen offset:1024// 000000004400: E05C1400 80861429
	v_mfma_f32_16x16x128_f8f6f4 v[152:155], a[88:95], a[160:167], 0// 000000004408: D3AD0098 1A034158
	v_mfma_f32_16x16x128_f8f6f4 v[156:159], a[88:95], a[176:183], 0// 000000004410: D3AD009C 1A036158
	buffer_load_dwordx4 a[24:27], v42, s[24:27], 0 offen       // 000000004418: E05C1000 8086182A
	buffer_load_dwordx4 a[28:31], v42, s[24:27], 0 offen offset:1024// 000000004420: E05C1400 80861C2A
	v_mul_f32_dpp v52, v30, v25 row_newbcast:0 row_mask:0xf bank_mask:0xf// 000000004428: 0A6832FA FF01501E
	v_mov_b32_e32 v53, v52                                     // 000000004430: 7E6A0334
	v_pk_fma_f32 v[96:97], v[128:129], v[52:53], v[96:97]      // 000000004434: D3B04060 1D826980
	v_pk_fma_f32 v[98:99], v[130:131], v[52:53], v[98:99]      // 00000000443C: D3B04062 1D8A6982
	v_pk_fma_f32 v[104:105], v[136:137], v[52:53], v[104:105]  // 000000004444: D3B04068 1DA26988
	v_pk_fma_f32 v[106:107], v[138:139], v[52:53], v[106:107]  // 00000000444C: D3B0406A 1DAA698A
	v_mul_f32_dpp v52, v30, v25 row_newbcast:1 row_mask:0xf bank_mask:0xf// 000000004454: 0A6832FA FF01511E
	v_mov_b32_e32 v53, v52                                     // 00000000445C: 7E6A0334
	v_pk_fma_f32 v[112:113], v[144:145], v[52:53], v[112:113]  // 000000004460: D3B04070 1DC26990
	v_pk_fma_f32 v[114:115], v[146:147], v[52:53], v[114:115]  // 000000004468: D3B04072 1DCA6992
	v_pk_fma_f32 v[120:121], v[152:153], v[52:53], v[120:121]  // 000000004470: D3B04078 1DE26998
	v_pk_fma_f32 v[122:123], v[154:155], v[52:53], v[122:123]  // 000000004478: D3B0407A 1DEA699A
	v_mul_f32_dpp v52, v30, v26 row_newbcast:0 row_mask:0xf bank_mask:0xf// 000000004480: 0A6834FA FF01501E
	v_mov_b32_e32 v53, v52                                     // 000000004488: 7E6A0334
	v_pk_fma_f32 v[100:101], v[132:133], v[52:53], v[100:101]  // 00000000448C: D3B04064 1D926984
	v_pk_fma_f32 v[102:103], v[134:135], v[52:53], v[102:103]  // 000000004494: D3B04066 1D9A6986
	v_pk_fma_f32 v[108:109], v[140:141], v[52:53], v[108:109]  // 00000000449C: D3B0406C 1DB2698C
	v_pk_fma_f32 v[110:111], v[142:143], v[52:53], v[110:111]  // 0000000044A4: D3B0406E 1DBA698E
	v_mul_f32_dpp v52, v30, v26 row_newbcast:1 row_mask:0xf bank_mask:0xf// 0000000044AC: 0A6834FA FF01511E
	v_mov_b32_e32 v53, v52                                     // 0000000044B4: 7E6A0334
	v_pk_fma_f32 v[116:117], v[148:149], v[52:53], v[116:117]  // 0000000044B8: D3B04074 1DD26994
	v_pk_fma_f32 v[118:119], v[150:151], v[52:53], v[118:119]  // 0000000044C0: D3B04076 1DDA6996
	v_pk_fma_f32 v[124:125], v[156:157], v[52:53], v[124:125]  // 0000000044C8: D3B0407C 1DF2699C
	v_pk_fma_f32 v[126:127], v[158:159], v[52:53], v[126:127]  // 0000000044D0: D3B0407E 1DFA699E
	s_waitcnt vmcnt(13)                                        // 0000000044D8: BF8C0F7D
	v_mfma_f32_16x16x128_f8f6f4 v[128:131], a[96:103], a[168:175], 0// 0000000044DC: D3AD0080 1A035160
	ds_read_b128 a[128:131], v2                                // 0000000044E4: DBFE0000 80000002
	ds_read_b128 a[132:135], v2 offset:64                      // 0000000044EC: DBFE0040 84000002
	ds_read_b32 v21, v3 offset:8448                            // 0000000044F4: D86C2100 15000003
	v_mfma_f32_16x16x128_f8f6f4 v[132:135], a[96:103], a[184:191], 0// 0000000044FC: D3AD0084 1A037160
	buffer_load_dwordx4 a[32:35], v39, s[24:27], 0 offen offset:2048// 000000004504: E05C1800 80862027
	buffer_load_dwordx4 a[36:39], v39, s[24:27], 0 offen offset:3072// 00000000450C: E05C1C00 80862427
	v_mfma_f32_16x16x128_f8f6f4 v[136:139], a[104:111], a[168:175], 0// 000000004514: D3AD0088 1A035168
	ds_read_b128 a[136:139], v2 offset:4224                    // 00000000451C: DBFE1080 88000002
	ds_read_b128 a[140:143], v2 offset:4288                    // 000000004524: DBFE10C0 8C000002
	ds_read_b32 v22, v3 offset:8704                            // 00000000452C: D86C2200 16000003
	v_mfma_f32_16x16x128_f8f6f4 v[140:143], a[104:111], a[184:191], 0// 000000004534: D3AD008C 1A037168
	buffer_load_dwordx4 a[40:43], v40, s[24:27], 0 offen offset:2048// 00000000453C: E05C1800 80862828
	buffer_load_dwordx4 a[44:47], v40, s[24:27], 0 offen offset:3072// 000000004544: E05C1C00 80862C28
	s_waitcnt vmcnt(13)                                        // 00000000454C: BF8C0F7D
	v_mfma_f32_16x16x128_f8f6f4 v[144:147], a[112:119], a[168:175], 0// 000000004550: D3AD0090 1A035170
	ds_read_b128 a[144:147], v2 offset:512                     // 000000004558: DBFE0200 90000002
	ds_read_b128 a[148:151], v2 offset:576                     // 000000004560: DBFE0240 94000002
	ds_read_b32 v23, v3 offset:8960                            // 000000004568: D86C2300 17000003
	v_mfma_f32_16x16x128_f8f6f4 v[148:151], a[112:119], a[184:191], 0// 000000004570: D3AD0094 1A037170
	buffer_load_dwordx4 a[48:51], v41, s[24:27], 0 offen offset:2048// 000000004578: E05C1800 80863029
	buffer_load_dwordx4 a[52:55], v41, s[24:27], 0 offen offset:3072// 000000004580: E05C1C00 80863429
	v_mfma_f32_16x16x128_f8f6f4 v[152:155], a[120:127], a[168:175], 0// 000000004588: D3AD0098 1A035178
	ds_read_b128 a[152:155], v2 offset:4736                    // 000000004590: DBFE1280 98000002
	ds_read_b128 a[156:159], v2 offset:4800                    // 000000004598: DBFE12C0 9C000002
	ds_read_b32 v24, v3 offset:9216                            // 0000000045A0: D86C2400 18000003
	v_mfma_f32_16x16x128_f8f6f4 v[156:159], a[120:127], a[184:191], 0// 0000000045A8: D3AD009C 1A037178
	buffer_load_dwordx4 a[56:59], v42, s[24:27], 0 offen offset:2048// 0000000045B0: E05C1800 8086382A
	buffer_load_dwordx4 a[60:63], v42, s[24:27], 0 offen offset:3072// 0000000045B8: E05C1C00 80863C2A
	v_mul_f32_dpp v52, v30, v27 row_newbcast:2 row_mask:0xf bank_mask:0xf// 0000000045C0: 0A6836FA FF01521E
	v_mov_b32_e32 v53, v52                                     // 0000000045C8: 7E6A0334
	v_pk_fma_f32 v[96:97], v[128:129], v[52:53], v[96:97]      // 0000000045CC: D3B04060 1D826980
	v_pk_fma_f32 v[98:99], v[130:131], v[52:53], v[98:99]      // 0000000045D4: D3B04062 1D8A6982
	v_pk_fma_f32 v[104:105], v[136:137], v[52:53], v[104:105]  // 0000000045DC: D3B04068 1DA26988
	v_pk_fma_f32 v[106:107], v[138:139], v[52:53], v[106:107]  // 0000000045E4: D3B0406A 1DAA698A
	v_mul_f32_dpp v52, v30, v27 row_newbcast:3 row_mask:0xf bank_mask:0xf// 0000000045EC: 0A6836FA FF01531E
	v_mov_b32_e32 v53, v52                                     // 0000000045F4: 7E6A0334
	v_pk_fma_f32 v[112:113], v[144:145], v[52:53], v[112:113]  // 0000000045F8: D3B04070 1DC26990
	v_pk_fma_f32 v[114:115], v[146:147], v[52:53], v[114:115]  // 000000004600: D3B04072 1DCA6992
	v_pk_fma_f32 v[120:121], v[152:153], v[52:53], v[120:121]  // 000000004608: D3B04078 1DE26998
	v_pk_fma_f32 v[122:123], v[154:155], v[52:53], v[122:123]  // 000000004610: D3B0407A 1DEA699A
	v_mul_f32_dpp v52, v30, v28 row_newbcast:2 row_mask:0xf bank_mask:0xf// 000000004618: 0A6838FA FF01521E
	v_mov_b32_e32 v53, v52                                     // 000000004620: 7E6A0334
	v_pk_fma_f32 v[100:101], v[132:133], v[52:53], v[100:101]  // 000000004624: D3B04064 1D926984
	v_pk_fma_f32 v[102:103], v[134:135], v[52:53], v[102:103]  // 00000000462C: D3B04066 1D9A6986
	v_pk_fma_f32 v[108:109], v[140:141], v[52:53], v[108:109]  // 000000004634: D3B0406C 1DB2698C
	v_pk_fma_f32 v[110:111], v[142:143], v[52:53], v[110:111]  // 00000000463C: D3B0406E 1DBA698E
	v_mul_f32_dpp v52, v30, v28 row_newbcast:3 row_mask:0xf bank_mask:0xf// 000000004644: 0A6838FA FF01531E
	v_mov_b32_e32 v53, v52                                     // 00000000464C: 7E6A0334
	v_pk_fma_f32 v[116:117], v[148:149], v[52:53], v[116:117]  // 000000004650: D3B04074 1DD26994
	v_pk_fma_f32 v[118:119], v[150:151], v[52:53], v[118:119]  // 000000004658: D3B04076 1DDA6996
	v_pk_fma_f32 v[124:125], v[156:157], v[52:53], v[124:125]  // 000000004660: D3B0407C 1DF2699C
	v_pk_fma_f32 v[126:127], v[158:159], v[52:53], v[126:127]  // 000000004668: D3B0407E 1DFA699E
	s_add_u32 s56, 0x200, s76                                  // 000000004670: 80384CFF 00000200
	s_cmp_lt_u32 s56, s77                                      // 000000004678: BF0A4D38
	s_cselect_b32 s53, s53, 0                                  // 00000000467C: 85358035
	s_cselect_b32 s3, s3, 0                                    // 000000004680: 85038003
	s_add_u32 s56, 0x200, s76                                  // 000000004684: 80384CFF 00000200
	s_cmp_lt_u32 s56, s77                                      // 00000000468C: BF0A4D38
	s_cselect_b32 s54, s54, 0                                  // 000000004690: 85368036
	s_add_u32 s20, s53, s20                                    // 000000004694: 80141435
	s_addc_u32 s21, 0, s21                                     // 000000004698: 82151580
	s_add_u32 s28, s3, s28                                     // 00000000469C: 801C1C03
	s_addc_u32 s29, 0, s29                                     // 0000000046A0: 821D1D80
	s_add_u32 s24, s54, s24                                    // 0000000046A4: 80181836
	s_addc_u32 s25, 0, s25                                     // 0000000046A8: 82191980
	s_add_u32 s96, s94, s96                                    // 0000000046AC: 8060605E
	s_addc_u32 s97, 0, s97                                     // 0000000046B0: 82616180
	s_addk_i32 s76, 0x100                                      // 0000000046B4: B74C0100
	s_cmp_lt_i32 s76, s77                                      // 0000000046B8: BF044D4C
	s_cbranch_scc0 label_0631                                  // 0000000046BC: BF840001
	s_branch label_033C                                        // 0000000046C0: BF82FD0B

00000000000046c4 <label_0631>:
	s_mov_b32 s36, -1                                          // 0000000046C4: BEA400C1
	s_mov_b32 s37, -1                                          // 0000000046C8: BEA500C1
	s_mov_b64 s[56:57], 0                                      // 0000000046CC: BEB80180
	s_cmp_lt_u32 s78, s62                                      // 0000000046D0: BF0A3E4E
	s_cselect_b64 s[20:21], s[36:37], s[56:57]                 // 0000000046D4: 85943824
	s_cmp_lt_u32 s79, s62                                      // 0000000046D8: BF0A3E4F
	s_cselect_b64 s[22:23], s[36:37], s[56:57]                 // 0000000046DC: 85963824
	s_cmp_lt_u32 s80, s62                                      // 0000000046E0: BF0A3E50
	s_cselect_b64 s[24:25], s[36:37], s[56:57]                 // 0000000046E4: 85983824
	s_cmp_lt_u32 s81, s62                                      // 0000000046E8: BF0A3E51
	s_cselect_b64 s[26:27], s[36:37], s[56:57]                 // 0000000046EC: 859A3824
	s_cmp_lt_u32 s82, s62                                      // 0000000046F0: BF0A3E52
	s_cselect_b64 s[28:29], s[36:37], s[56:57]                 // 0000000046F4: 859C3824
	s_cmp_lt_u32 s83, s62                                      // 0000000046F8: BF0A3E53
	s_cselect_b64 s[30:31], s[36:37], s[56:57]                 // 0000000046FC: 859E3824
	s_cmp_lt_u32 s84, s62                                      // 000000004700: BF0A3E54
	s_cselect_b64 s[32:33], s[36:37], s[56:57]                 // 000000004704: 85A03824
	s_cmp_lt_u32 s85, s62                                      // 000000004708: BF0A3E55
	s_cselect_b64 s[34:35], s[36:37], s[56:57]                 // 00000000470C: 85A23824
	s_waitcnt vmcnt(12)                                        // 000000004710: BF8C0F7C
	buffer_load_dwordx4 a[0:3], v43, s[12:15], 0 offen         // 000000004714: E05C1000 8083002B
	v_mul_f32_e32 v52, v64, v64                                // 00000000471C: 0A688140
	v_mul_f32_e32 v53, v65, v65                                // 000000004720: 0A6A8341
	v_mul_f32_e32 v54, v66, v66                                // 000000004724: 0A6C8542
	v_mul_f32_e32 v55, v67, v67                                // 000000004728: 0A6E8743
	s_mov_b32 s3, 0xbd92220c                                   // 00000000472C: BE8300FF BD92220C
	v_fma_f32 v52, v52, s3, v1                                 // 000000004734: D1CB0034 04040734
	v_fma_f32 v53, v53, s3, v1                                 // 00000000473C: D1CB0035 04040735
	v_fma_f32 v54, v54, s3, v1                                 // 000000004744: D1CB0036 04040736
	v_fma_f32 v55, v55, s3, v1                                 // 00000000474C: D1CB0037 04040737
	v_mul_f32_e32 v52, v52, v64                                // 000000004754: 0A688134
	v_mul_f32_e32 v53, v53, v65                                // 000000004758: 0A6A8335
	v_mul_f32_e32 v54, v54, v66                                // 00000000475C: 0A6C8536
	v_mul_f32_e32 v55, v55, v67                                // 000000004760: 0A6E8737
	v_mul_f32_e64 v52, v52, s6                                 // 000000004764: D1050034 00000D34
	v_mul_f32_e64 v53, v53, s6                                 // 00000000476C: D1050035 00000D35
	v_mul_f32_e64 v54, v54, s6                                 // 000000004774: D1050036 00000D36
	v_mul_f32_e64 v55, v55, s6                                 // 00000000477C: D1050037 00000D37
	v_exp_f32_e32 v52, v52                                     // 000000004784: 7E684134
	v_exp_f32_e32 v53, v53                                     // 000000004788: 7E6A4135
	v_exp_f32_e32 v54, v54                                     // 00000000478C: 7E6C4136
	v_exp_f32_e32 v55, v55                                     // 000000004790: 7E6E4137
	buffer_load_dwordx4 a[4:7], v43, s[12:15], 0 offen offset:1024// 000000004794: E05C1400 8083042B
	v_add_f32_e64 v52, v52, 1.0                                // 00000000479C: D1010034 0001E534
	v_add_f32_e64 v53, v53, 1.0                                // 0000000047A4: D1010035 0001E535
	v_add_f32_e64 v54, v54, 1.0                                // 0000000047AC: D1010036 0001E536
	v_add_f32_e64 v55, v55, 1.0                                // 0000000047B4: D1010037 0001E537
	v_rcp_f32_e32 v52, v52                                     // 0000000047BC: 7E684534
	v_rcp_f32_e32 v53, v53                                     // 0000000047C0: 7E6A4535
	v_rcp_f32_e32 v54, v54                                     // 0000000047C4: 7E6C4536
	v_rcp_f32_e32 v55, v55                                     // 0000000047C8: 7E6E4537
	v_mul_f32_e32 v64, v64, v52                                // 0000000047CC: 0A806940
	v_mul_f32_e32 v65, v65, v53                                // 0000000047D0: 0A826B41
	v_mul_f32_e32 v66, v66, v54                                // 0000000047D4: 0A846D42
	v_mul_f32_e32 v67, v67, v55                                // 0000000047D8: 0A866F43
	v_mul_f32_e32 v64, v64, v96                                // 0000000047DC: 0A80C140
	v_mul_f32_e32 v65, v65, v97                                // 0000000047E0: 0A82C341
	v_mul_f32_e32 v66, v66, v98                                // 0000000047E4: 0A84C542
	v_mul_f32_e32 v67, v67, v99                                // 0000000047E8: 0A86C743
	buffer_load_dwordx4 a[8:11], v44, s[12:15], 0 offen        // 0000000047EC: E05C1000 8083082C
	v_mul_f32_e32 v52, v68, v68                                // 0000000047F4: 0A688944
	v_mul_f32_e32 v53, v69, v69                                // 0000000047F8: 0A6A8B45
	v_mul_f32_e32 v54, v70, v70                                // 0000000047FC: 0A6C8D46
	v_mul_f32_e32 v55, v71, v71                                // 000000004800: 0A6E8F47
	s_mov_b32 s3, 0xbd92220c                                   // 000000004804: BE8300FF BD92220C
	v_fma_f32 v52, v52, s3, v1                                 // 00000000480C: D1CB0034 04040734
	v_fma_f32 v53, v53, s3, v1                                 // 000000004814: D1CB0035 04040735
	v_fma_f32 v54, v54, s3, v1                                 // 00000000481C: D1CB0036 04040736
	v_fma_f32 v55, v55, s3, v1                                 // 000000004824: D1CB0037 04040737
	v_mul_f32_e32 v52, v52, v68                                // 00000000482C: 0A688934
	v_mul_f32_e32 v53, v53, v69                                // 000000004830: 0A6A8B35
	v_mul_f32_e32 v54, v54, v70                                // 000000004834: 0A6C8D36
	v_mul_f32_e32 v55, v55, v71                                // 000000004838: 0A6E8F37
	v_mul_f32_e64 v52, v52, s6                                 // 00000000483C: D1050034 00000D34
	v_mul_f32_e64 v53, v53, s6                                 // 000000004844: D1050035 00000D35
	v_mul_f32_e64 v54, v54, s6                                 // 00000000484C: D1050036 00000D36
	v_mul_f32_e64 v55, v55, s6                                 // 000000004854: D1050037 00000D37
	v_exp_f32_e32 v52, v52                                     // 00000000485C: 7E684134
	v_exp_f32_e32 v53, v53                                     // 000000004860: 7E6A4135
	v_exp_f32_e32 v54, v54                                     // 000000004864: 7E6C4136
	v_exp_f32_e32 v55, v55                                     // 000000004868: 7E6E4137
	buffer_load_dwordx4 a[12:15], v44, s[12:15], 0 offen offset:1024// 00000000486C: E05C1400 80830C2C
	v_add_f32_e64 v52, v52, 1.0                                // 000000004874: D1010034 0001E534
	v_add_f32_e64 v53, v53, 1.0                                // 00000000487C: D1010035 0001E535
	v_add_f32_e64 v54, v54, 1.0                                // 000000004884: D1010036 0001E536
	v_add_f32_e64 v55, v55, 1.0                                // 00000000488C: D1010037 0001E537
	v_rcp_f32_e32 v52, v52                                     // 000000004894: 7E684534
	v_rcp_f32_e32 v53, v53                                     // 000000004898: 7E6A4535
	v_rcp_f32_e32 v54, v54                                     // 00000000489C: 7E6C4536
	v_rcp_f32_e32 v55, v55                                     // 0000000048A0: 7E6E4537
	v_mul_f32_e32 v68, v68, v52                                // 0000000048A4: 0A886944
	v_mul_f32_e32 v69, v69, v53                                // 0000000048A8: 0A8A6B45
	v_mul_f32_e32 v70, v70, v54                                // 0000000048AC: 0A8C6D46
	v_mul_f32_e32 v71, v71, v55                                // 0000000048B0: 0A8E6F47
	v_mul_f32_e32 v68, v68, v100                               // 0000000048B4: 0A88C944
	v_mul_f32_e32 v69, v69, v101                               // 0000000048B8: 0A8ACB45
	v_mul_f32_e32 v70, v70, v102                               // 0000000048BC: 0A8CCD46
	v_mul_f32_e32 v71, v71, v103                               // 0000000048C0: 0A8ECF47
	s_waitcnt vmcnt(12)                                        // 0000000048C4: BF8C0F7C
	buffer_load_dwordx4 a[16:19], v45, s[12:15], 0 offen       // 0000000048C8: E05C1000 8083102D
	v_mul_f32_e32 v52, v72, v72                                // 0000000048D0: 0A689148
	v_mul_f32_e32 v53, v73, v73                                // 0000000048D4: 0A6A9349
	v_mul_f32_e32 v54, v74, v74                                // 0000000048D8: 0A6C954A
	v_mul_f32_e32 v55, v75, v75                                // 0000000048DC: 0A6E974B
	s_mov_b32 s3, 0xbd92220c                                   // 0000000048E0: BE8300FF BD92220C
	v_fma_f32 v52, v52, s3, v1                                 // 0000000048E8: D1CB0034 04040734
	v_fma_f32 v53, v53, s3, v1                                 // 0000000048F0: D1CB0035 04040735
	v_fma_f32 v54, v54, s3, v1                                 // 0000000048F8: D1CB0036 04040736
	v_fma_f32 v55, v55, s3, v1                                 // 000000004900: D1CB0037 04040737
	v_mul_f32_e32 v52, v52, v72                                // 000000004908: 0A689134
	v_mul_f32_e32 v53, v53, v73                                // 00000000490C: 0A6A9335
	v_mul_f32_e32 v54, v54, v74                                // 000000004910: 0A6C9536
	v_mul_f32_e32 v55, v55, v75                                // 000000004914: 0A6E9737
	v_mul_f32_e64 v52, v52, s6                                 // 000000004918: D1050034 00000D34
	v_mul_f32_e64 v53, v53, s6                                 // 000000004920: D1050035 00000D35
	v_mul_f32_e64 v54, v54, s6                                 // 000000004928: D1050036 00000D36
	v_mul_f32_e64 v55, v55, s6                                 // 000000004930: D1050037 00000D37
	v_exp_f32_e32 v52, v52                                     // 000000004938: 7E684134
	v_exp_f32_e32 v53, v53                                     // 00000000493C: 7E6A4135
	v_exp_f32_e32 v54, v54                                     // 000000004940: 7E6C4136
	v_exp_f32_e32 v55, v55                                     // 000000004944: 7E6E4137
	buffer_load_dwordx4 a[20:23], v45, s[12:15], 0 offen offset:1024// 000000004948: E05C1400 8083142D
	v_add_f32_e64 v52, v52, 1.0                                // 000000004950: D1010034 0001E534
	v_add_f32_e64 v53, v53, 1.0                                // 000000004958: D1010035 0001E535
	v_add_f32_e64 v54, v54, 1.0                                // 000000004960: D1010036 0001E536
	v_add_f32_e64 v55, v55, 1.0                                // 000000004968: D1010037 0001E537
	v_rcp_f32_e32 v52, v52                                     // 000000004970: 7E684534
	v_rcp_f32_e32 v53, v53                                     // 000000004974: 7E6A4535
	v_rcp_f32_e32 v54, v54                                     // 000000004978: 7E6C4536
	v_rcp_f32_e32 v55, v55                                     // 00000000497C: 7E6E4537
	v_mul_f32_e32 v72, v72, v52                                // 000000004980: 0A906948
	v_mul_f32_e32 v73, v73, v53                                // 000000004984: 0A926B49
	v_mul_f32_e32 v74, v74, v54                                // 000000004988: 0A946D4A
	v_mul_f32_e32 v75, v75, v55                                // 00000000498C: 0A966F4B
	v_mul_f32_e32 v72, v72, v104                               // 000000004990: 0A90D148
	v_mul_f32_e32 v73, v73, v105                               // 000000004994: 0A92D349
	v_mul_f32_e32 v74, v74, v106                               // 000000004998: 0A94D54A
	v_mul_f32_e32 v75, v75, v107                               // 00000000499C: 0A96D74B
	buffer_load_dwordx4 a[24:27], v46, s[12:15], 0 offen       // 0000000049A0: E05C1000 8083182E
	v_mul_f32_e32 v52, v76, v76                                // 0000000049A8: 0A68994C
	v_mul_f32_e32 v53, v77, v77                                // 0000000049AC: 0A6A9B4D
	v_mul_f32_e32 v54, v78, v78                                // 0000000049B0: 0A6C9D4E
	v_mul_f32_e32 v55, v79, v79                                // 0000000049B4: 0A6E9F4F
	s_mov_b32 s3, 0xbd92220c                                   // 0000000049B8: BE8300FF BD92220C
	v_fma_f32 v52, v52, s3, v1                                 // 0000000049C0: D1CB0034 04040734
	v_fma_f32 v53, v53, s3, v1                                 // 0000000049C8: D1CB0035 04040735
	v_fma_f32 v54, v54, s3, v1                                 // 0000000049D0: D1CB0036 04040736
	v_fma_f32 v55, v55, s3, v1                                 // 0000000049D8: D1CB0037 04040737
	v_mul_f32_e32 v52, v52, v76                                // 0000000049E0: 0A689934
	v_mul_f32_e32 v53, v53, v77                                // 0000000049E4: 0A6A9B35
	v_mul_f32_e32 v54, v54, v78                                // 0000000049E8: 0A6C9D36
	v_mul_f32_e32 v55, v55, v79                                // 0000000049EC: 0A6E9F37
	v_mul_f32_e64 v52, v52, s6                                 // 0000000049F0: D1050034 00000D34
	v_mul_f32_e64 v53, v53, s6                                 // 0000000049F8: D1050035 00000D35
	v_mul_f32_e64 v54, v54, s6                                 // 000000004A00: D1050036 00000D36
	v_mul_f32_e64 v55, v55, s6                                 // 000000004A08: D1050037 00000D37
	v_exp_f32_e32 v52, v52                                     // 000000004A10: 7E684134
	v_exp_f32_e32 v53, v53                                     // 000000004A14: 7E6A4135
	v_exp_f32_e32 v54, v54                                     // 000000004A18: 7E6C4136
	v_exp_f32_e32 v55, v55                                     // 000000004A1C: 7E6E4137
	buffer_load_dwordx4 a[28:31], v46, s[12:15], 0 offen offset:1024// 000000004A20: E05C1400 80831C2E
	s_add_u32 s12, s74, s12                                    // 000000004A28: 800C0C4A
	s_addc_u32 s13, 0, s13                                     // 000000004A2C: 820D0D80
	v_add_f32_e64 v52, v52, 1.0                                // 000000004A30: D1010034 0001E534
	v_add_f32_e64 v53, v53, 1.0                                // 000000004A38: D1010035 0001E535
	v_add_f32_e64 v54, v54, 1.0                                // 000000004A40: D1010036 0001E536
	v_add_f32_e64 v55, v55, 1.0                                // 000000004A48: D1010037 0001E537
	v_rcp_f32_e32 v52, v52                                     // 000000004A50: 7E684534
	v_rcp_f32_e32 v53, v53                                     // 000000004A54: 7E6A4535
	v_rcp_f32_e32 v54, v54                                     // 000000004A58: 7E6C4536
	v_rcp_f32_e32 v55, v55                                     // 000000004A5C: 7E6E4537
	v_mul_f32_e32 v76, v76, v52                                // 000000004A60: 0A98694C
	v_mul_f32_e32 v77, v77, v53                                // 000000004A64: 0A9A6B4D
	v_mul_f32_e32 v78, v78, v54                                // 000000004A68: 0A9C6D4E
	v_mul_f32_e32 v79, v79, v55                                // 000000004A6C: 0A9E6F4F
	v_mul_f32_e32 v76, v76, v108                               // 000000004A70: 0A98D94C
	v_mul_f32_e32 v77, v77, v109                               // 000000004A74: 0A9ADB4D
	v_mul_f32_e32 v78, v78, v110                               // 000000004A78: 0A9CDD4E
	v_mul_f32_e32 v79, v79, v111                               // 000000004A7C: 0A9EDF4F
	s_waitcnt vmcnt(12)                                        // 000000004A80: BF8C0F7C
	buffer_load_dwordx4 a[32:35], v43, s[12:15], 0 offen       // 000000004A84: E05C1000 8083202B
	v_mul_f32_e32 v52, v80, v80                                // 000000004A8C: 0A68A150
	v_mul_f32_e32 v53, v81, v81                                // 000000004A90: 0A6AA351
	v_mul_f32_e32 v54, v82, v82                                // 000000004A94: 0A6CA552
	v_mul_f32_e32 v55, v83, v83                                // 000000004A98: 0A6EA753
	s_mov_b32 s3, 0xbd92220c                                   // 000000004A9C: BE8300FF BD92220C
	v_fma_f32 v52, v52, s3, v1                                 // 000000004AA4: D1CB0034 04040734
	v_fma_f32 v53, v53, s3, v1                                 // 000000004AAC: D1CB0035 04040735
	v_fma_f32 v54, v54, s3, v1                                 // 000000004AB4: D1CB0036 04040736
	v_fma_f32 v55, v55, s3, v1                                 // 000000004ABC: D1CB0037 04040737
	v_mul_f32_e32 v52, v52, v80                                // 000000004AC4: 0A68A134
	v_mul_f32_e32 v53, v53, v81                                // 000000004AC8: 0A6AA335
	v_mul_f32_e32 v54, v54, v82                                // 000000004ACC: 0A6CA536
	v_mul_f32_e32 v55, v55, v83                                // 000000004AD0: 0A6EA737
	v_mul_f32_e64 v52, v52, s6                                 // 000000004AD4: D1050034 00000D34
	v_mul_f32_e64 v53, v53, s6                                 // 000000004ADC: D1050035 00000D35
	v_mul_f32_e64 v54, v54, s6                                 // 000000004AE4: D1050036 00000D36
	v_mul_f32_e64 v55, v55, s6                                 // 000000004AEC: D1050037 00000D37
	v_exp_f32_e32 v52, v52                                     // 000000004AF4: 7E684134
	v_exp_f32_e32 v53, v53                                     // 000000004AF8: 7E6A4135
	v_exp_f32_e32 v54, v54                                     // 000000004AFC: 7E6C4136
	v_exp_f32_e32 v55, v55                                     // 000000004B00: 7E6E4137
	buffer_load_dwordx4 a[36:39], v43, s[12:15], 0 offen offset:1024// 000000004B04: E05C1400 8083242B
	v_add_f32_e64 v52, v52, 1.0                                // 000000004B0C: D1010034 0001E534
	v_add_f32_e64 v53, v53, 1.0                                // 000000004B14: D1010035 0001E535
	v_add_f32_e64 v54, v54, 1.0                                // 000000004B1C: D1010036 0001E536
	v_add_f32_e64 v55, v55, 1.0                                // 000000004B24: D1010037 0001E537
	v_rcp_f32_e32 v52, v52                                     // 000000004B2C: 7E684534
	v_rcp_f32_e32 v53, v53                                     // 000000004B30: 7E6A4535
	v_rcp_f32_e32 v54, v54                                     // 000000004B34: 7E6C4536
	v_rcp_f32_e32 v55, v55                                     // 000000004B38: 7E6E4537
	v_mul_f32_e32 v80, v80, v52                                // 000000004B3C: 0AA06950
	v_mul_f32_e32 v81, v81, v53                                // 000000004B40: 0AA26B51
	v_mul_f32_e32 v82, v82, v54                                // 000000004B44: 0AA46D52
	v_mul_f32_e32 v83, v83, v55                                // 000000004B48: 0AA66F53
	v_mul_f32_e32 v80, v80, v112                               // 000000004B4C: 0AA0E150
	v_mul_f32_e32 v81, v81, v113                               // 000000004B50: 0AA2E351
	v_mul_f32_e32 v82, v82, v114                               // 000000004B54: 0AA4E552
	v_mul_f32_e32 v83, v83, v115                               // 000000004B58: 0AA6E753
	buffer_load_dwordx4 a[40:43], v44, s[12:15], 0 offen       // 000000004B5C: E05C1000 8083282C
	v_mul_f32_e32 v52, v84, v84                                // 000000004B64: 0A68A954
	v_mul_f32_e32 v53, v85, v85                                // 000000004B68: 0A6AAB55
	v_mul_f32_e32 v54, v86, v86                                // 000000004B6C: 0A6CAD56
	v_mul_f32_e32 v55, v87, v87                                // 000000004B70: 0A6EAF57
	s_mov_b32 s3, 0xbd92220c                                   // 000000004B74: BE8300FF BD92220C
	v_fma_f32 v52, v52, s3, v1                                 // 000000004B7C: D1CB0034 04040734
	v_fma_f32 v53, v53, s3, v1                                 // 000000004B84: D1CB0035 04040735
	v_fma_f32 v54, v54, s3, v1                                 // 000000004B8C: D1CB0036 04040736
	v_fma_f32 v55, v55, s3, v1                                 // 000000004B94: D1CB0037 04040737
	v_mul_f32_e32 v52, v52, v84                                // 000000004B9C: 0A68A934
	v_mul_f32_e32 v53, v53, v85                                // 000000004BA0: 0A6AAB35
	v_mul_f32_e32 v54, v54, v86                                // 000000004BA4: 0A6CAD36
	v_mul_f32_e32 v55, v55, v87                                // 000000004BA8: 0A6EAF37
	v_mul_f32_e64 v52, v52, s6                                 // 000000004BAC: D1050034 00000D34
	v_mul_f32_e64 v53, v53, s6                                 // 000000004BB4: D1050035 00000D35
	v_mul_f32_e64 v54, v54, s6                                 // 000000004BBC: D1050036 00000D36
	v_mul_f32_e64 v55, v55, s6                                 // 000000004BC4: D1050037 00000D37
	v_exp_f32_e32 v52, v52                                     // 000000004BCC: 7E684134
	v_exp_f32_e32 v53, v53                                     // 000000004BD0: 7E6A4135
	v_exp_f32_e32 v54, v54                                     // 000000004BD4: 7E6C4136
	v_exp_f32_e32 v55, v55                                     // 000000004BD8: 7E6E4137
	buffer_load_dwordx4 a[44:47], v44, s[12:15], 0 offen offset:1024// 000000004BDC: E05C1400 80832C2C
	v_add_f32_e64 v52, v52, 1.0                                // 000000004BE4: D1010034 0001E534
	v_add_f32_e64 v53, v53, 1.0                                // 000000004BEC: D1010035 0001E535
	v_add_f32_e64 v54, v54, 1.0                                // 000000004BF4: D1010036 0001E536
	v_add_f32_e64 v55, v55, 1.0                                // 000000004BFC: D1010037 0001E537
	v_rcp_f32_e32 v52, v52                                     // 000000004C04: 7E684534
	v_rcp_f32_e32 v53, v53                                     // 000000004C08: 7E6A4535
	v_rcp_f32_e32 v54, v54                                     // 000000004C0C: 7E6C4536
	v_rcp_f32_e32 v55, v55                                     // 000000004C10: 7E6E4537
	v_mul_f32_e32 v84, v84, v52                                // 000000004C14: 0AA86954
	v_mul_f32_e32 v85, v85, v53                                // 000000004C18: 0AAA6B55
	v_mul_f32_e32 v86, v86, v54                                // 000000004C1C: 0AAC6D56
	v_mul_f32_e32 v87, v87, v55                                // 000000004C20: 0AAE6F57
	v_mul_f32_e32 v84, v84, v116                               // 000000004C24: 0AA8E954
	v_mul_f32_e32 v85, v85, v117                               // 000000004C28: 0AAAEB55
	v_mul_f32_e32 v86, v86, v118                               // 000000004C2C: 0AACED56
	v_mul_f32_e32 v87, v87, v119                               // 000000004C30: 0AAEEF57
	s_waitcnt vmcnt(12)                                        // 000000004C34: BF8C0F7C
	buffer_load_dwordx4 a[48:51], v45, s[12:15], 0 offen       // 000000004C38: E05C1000 8083302D
	v_mul_f32_e32 v52, v88, v88                                // 000000004C40: 0A68B158
	v_mul_f32_e32 v53, v89, v89                                // 000000004C44: 0A6AB359
	v_mul_f32_e32 v54, v90, v90                                // 000000004C48: 0A6CB55A
	v_mul_f32_e32 v55, v91, v91                                // 000000004C4C: 0A6EB75B
	s_mov_b32 s3, 0xbd92220c                                   // 000000004C50: BE8300FF BD92220C
	v_fma_f32 v52, v52, s3, v1                                 // 000000004C58: D1CB0034 04040734
	v_fma_f32 v53, v53, s3, v1                                 // 000000004C60: D1CB0035 04040735
	v_fma_f32 v54, v54, s3, v1                                 // 000000004C68: D1CB0036 04040736
	v_fma_f32 v55, v55, s3, v1                                 // 000000004C70: D1CB0037 04040737
	v_mul_f32_e32 v52, v52, v88                                // 000000004C78: 0A68B134
	v_mul_f32_e32 v53, v53, v89                                // 000000004C7C: 0A6AB335
	v_mul_f32_e32 v54, v54, v90                                // 000000004C80: 0A6CB536
	v_mul_f32_e32 v55, v55, v91                                // 000000004C84: 0A6EB737
	v_mul_f32_e64 v52, v52, s6                                 // 000000004C88: D1050034 00000D34
	v_mul_f32_e64 v53, v53, s6                                 // 000000004C90: D1050035 00000D35
	v_mul_f32_e64 v54, v54, s6                                 // 000000004C98: D1050036 00000D36
	v_mul_f32_e64 v55, v55, s6                                 // 000000004CA0: D1050037 00000D37
	v_exp_f32_e32 v52, v52                                     // 000000004CA8: 7E684134
	v_exp_f32_e32 v53, v53                                     // 000000004CAC: 7E6A4135
	v_exp_f32_e32 v54, v54                                     // 000000004CB0: 7E6C4136
	v_exp_f32_e32 v55, v55                                     // 000000004CB4: 7E6E4137
	buffer_load_dwordx4 a[52:55], v45, s[12:15], 0 offen offset:1024// 000000004CB8: E05C1400 8083342D
	v_add_f32_e64 v52, v52, 1.0                                // 000000004CC0: D1010034 0001E534
	v_add_f32_e64 v53, v53, 1.0                                // 000000004CC8: D1010035 0001E535
	v_add_f32_e64 v54, v54, 1.0                                // 000000004CD0: D1010036 0001E536
	v_add_f32_e64 v55, v55, 1.0                                // 000000004CD8: D1010037 0001E537
	v_rcp_f32_e32 v52, v52                                     // 000000004CE0: 7E684534
	v_rcp_f32_e32 v53, v53                                     // 000000004CE4: 7E6A4535
	v_rcp_f32_e32 v54, v54                                     // 000000004CE8: 7E6C4536
	v_rcp_f32_e32 v55, v55                                     // 000000004CEC: 7E6E4537
	v_mul_f32_e32 v88, v88, v52                                // 000000004CF0: 0AB06958
	v_mul_f32_e32 v89, v89, v53                                // 000000004CF4: 0AB26B59
	v_mul_f32_e32 v90, v90, v54                                // 000000004CF8: 0AB46D5A
	v_mul_f32_e32 v91, v91, v55                                // 000000004CFC: 0AB66F5B
	v_mul_f32_e32 v88, v88, v120                               // 000000004D00: 0AB0F158
	v_mul_f32_e32 v89, v89, v121                               // 000000004D04: 0AB2F359
	v_mul_f32_e32 v90, v90, v122                               // 000000004D08: 0AB4F55A
	v_mul_f32_e32 v91, v91, v123                               // 000000004D0C: 0AB6F75B
	buffer_load_dwordx4 a[56:59], v46, s[12:15], 0 offen       // 000000004D10: E05C1000 8083382E
	v_mul_f32_e32 v52, v92, v92                                // 000000004D18: 0A68B95C
	v_mul_f32_e32 v53, v93, v93                                // 000000004D1C: 0A6ABB5D
	v_mul_f32_e32 v54, v94, v94                                // 000000004D20: 0A6CBD5E
	v_mul_f32_e32 v55, v95, v95                                // 000000004D24: 0A6EBF5F
	s_mov_b32 s3, 0xbd92220c                                   // 000000004D28: BE8300FF BD92220C
	v_fma_f32 v52, v52, s3, v1                                 // 000000004D30: D1CB0034 04040734
	v_fma_f32 v53, v53, s3, v1                                 // 000000004D38: D1CB0035 04040735
	v_fma_f32 v54, v54, s3, v1                                 // 000000004D40: D1CB0036 04040736
	v_fma_f32 v55, v55, s3, v1                                 // 000000004D48: D1CB0037 04040737
	v_mul_f32_e32 v52, v52, v92                                // 000000004D50: 0A68B934
	v_mul_f32_e32 v53, v53, v93                                // 000000004D54: 0A6ABB35
	v_mul_f32_e32 v54, v54, v94                                // 000000004D58: 0A6CBD36
	v_mul_f32_e32 v55, v55, v95                                // 000000004D5C: 0A6EBF37
	v_mul_f32_e64 v52, v52, s6                                 // 000000004D60: D1050034 00000D34
	v_mul_f32_e64 v53, v53, s6                                 // 000000004D68: D1050035 00000D35
	v_mul_f32_e64 v54, v54, s6                                 // 000000004D70: D1050036 00000D36
	v_mul_f32_e64 v55, v55, s6                                 // 000000004D78: D1050037 00000D37
	v_exp_f32_e32 v52, v52                                     // 000000004D80: 7E684134
	v_exp_f32_e32 v53, v53                                     // 000000004D84: 7E6A4135
	v_exp_f32_e32 v54, v54                                     // 000000004D88: 7E6C4136
	v_exp_f32_e32 v55, v55                                     // 000000004D8C: 7E6E4137
	buffer_load_dwordx4 a[60:63], v46, s[12:15], 0 offen offset:1024// 000000004D90: E05C1400 80833C2E
	v_add_f32_e64 v52, v52, 1.0                                // 000000004D98: D1010034 0001E534
	v_add_f32_e64 v53, v53, 1.0                                // 000000004DA0: D1010035 0001E535
	v_add_f32_e64 v54, v54, 1.0                                // 000000004DA8: D1010036 0001E536
	v_add_f32_e64 v55, v55, 1.0                                // 000000004DB0: D1010037 0001E537
	v_rcp_f32_e32 v52, v52                                     // 000000004DB8: 7E684534
	v_rcp_f32_e32 v53, v53                                     // 000000004DBC: 7E6A4535
	v_rcp_f32_e32 v54, v54                                     // 000000004DC0: 7E6C4536
	v_rcp_f32_e32 v55, v55                                     // 000000004DC4: 7E6E4537
	v_mul_f32_e32 v92, v92, v52                                // 000000004DC8: 0AB8695C
	v_mul_f32_e32 v93, v93, v53                                // 000000004DCC: 0ABA6B5D
	v_mul_f32_e32 v94, v94, v54                                // 000000004DD0: 0ABC6D5E
	v_mul_f32_e32 v95, v95, v55                                // 000000004DD4: 0ABE6F5F
	v_mul_f32_e32 v92, v92, v124                               // 000000004DD8: 0AB8F95C
	v_mul_f32_e32 v93, v93, v125                               // 000000004DDC: 0ABAFB5D
	v_mul_f32_e32 v94, v94, v126                               // 000000004DE0: 0ABCFD5E
	v_mul_f32_e32 v95, v95, v127                               // 000000004DE4: 0ABEFF5F
	buffer_load_dword v29, v8, s[16:19], 0 offen               // 000000004DE8: E0501000 80041D08
	v_mov_b32_e32 v128, 0x358637bd                             // 000000004DF0: 7F0002FF 358637BD
	v_mov_b32_e32 v129, 0x358637bd                             // 000000004DF8: 7F0202FF 358637BD
	v_max3_f32 v128, |v64|, |v65|, v128                        // 000000004E00: D1D30380 06028340
	v_max3_f32 v128, |v66|, |v67|, v128                        // 000000004E08: D1D30380 06028742
	v_max3_f32 v129, |v68|, |v69|, v129                        // 000000004E10: D1D30381 06068B44
	v_max3_f32 v129, |v70|, |v71|, v129                        // 000000004E18: D1D30381 06068F46
	v_max3_f32 v128, |v72|, |v73|, v128                        // 000000004E20: D1D30380 06029348
	v_max3_f32 v128, |v74|, |v75|, v128                        // 000000004E28: D1D30380 0602974A
	v_max3_f32 v129, |v76|, |v77|, v129                        // 000000004E30: D1D30381 06069B4C
	v_max3_f32 v129, |v78|, |v79|, v129                        // 000000004E38: D1D30381 06069F4E
	v_mov_b32_e32 v52, v128                                    // 000000004E40: 7E680380
	s_nop 1                                                    // 000000004E44: BF800001
	v_permlane32_swap_b32_e32 v52, v128                        // 000000004E48: 7E68B580
	v_max_f32_e32 v128, v52, v128                              // 000000004E4C: 17010134
	v_mov_b32_e32 v52, v128                                    // 000000004E50: 7E680380
	s_nop 1                                                    // 000000004E54: BF800001
	v_permlane16_swap_b32_e32 v52, v128                        // 000000004E58: 7E68B380
	v_max_f32_e32 v128, v52, v128                              // 000000004E5C: 17010134
	v_mov_b32_e32 v52, v129                                    // 000000004E60: 7E680381
	s_nop 1                                                    // 000000004E64: BF800001
	v_permlane32_swap_b32_e32 v52, v129                        // 000000004E68: 7E68B581
	v_max_f32_e32 v129, v52, v129                              // 000000004E6C: 17030334
	v_mov_b32_e32 v52, v129                                    // 000000004E70: 7E680381
	s_nop 1                                                    // 000000004E74: BF800001
	v_permlane16_swap_b32_e32 v52, v129                        // 000000004E78: 7E68B381
	v_max_f32_e32 v129, v52, v129                              // 000000004E7C: 17030334
	v_lshlrev_b32_e32 v52, 2, v0                               // 000000004E80: 24680082
	s_mul_i32 s56, 64, s7                                      // 000000004E84: 923807C0
	v_add_u32_e32 v52, s56, v52                                // 000000004E88: 68686838
	s_mov_b32 s56, 0xffff                                      // 000000004E8C: BEB800FF 0000FFFF
	s_mov_b32 s57, 0                                           // 000000004E94: BEB90080
	s_mov_b64 exec, s[56:57]                                   // 000000004E98: BEFE0138
	ds_write_b32 v52, v128 offset:18944                        // 000000004E9C: D81A4A00 00008034
	ds_write_b32 v52, v129 offset:19200                        // 000000004EA4: D81A4B00 00008134
	s_mov_b32 s56, -1                                          // 000000004EAC: BEB800C1
	s_mov_b32 s57, -1                                          // 000000004EB0: BEB900C1
	s_mov_b64 exec, s[56:57]                                   // 000000004EB4: BEFE0138
	s_waitcnt lgkmcnt(0)                                       // 000000004EB8: BF8CC07F
	s_barrier                                                  // 000000004EBC: BF8A0000
	v_lshlrev_b32_e32 v52, 2, v0                               // 000000004EC0: 24680082
	ds_read_b32 v254, v52 offset:18944                         // 000000004EC4: D86C4A00 FE000034
	ds_read_b32 v255, v52 offset:19200                         // 000000004ECC: D86C4B00 FF000034
	s_waitcnt lgkmcnt(0)                                       // 000000004ED4: BF8CC07F
	v_mov_b32_e32 v52, v254                                    // 000000004ED8: 7E6803FE
	s_nop 1                                                    // 000000004EDC: BF800001
	v_permlane32_swap_b32_e32 v52, v254                        // 000000004EE0: 7E68B5FE
	v_max_f32_e32 v254, v52, v254                              // 000000004EE4: 17FDFD34
	v_mov_b32_e32 v52, v254                                    // 000000004EE8: 7E6803FE
	s_nop 1                                                    // 000000004EEC: BF800001
	v_permlane16_swap_b32_e32 v52, v254                        // 000000004EF0: 7E68B3FE
	v_max_f32_e32 v254, v52, v254                              // 000000004EF4: 17FDFD34
	v_mov_b32_e32 v52, v255                                    // 000000004EF8: 7E6803FF
	s_nop 1                                                    // 000000004EFC: BF800001
	v_permlane32_swap_b32_e32 v52, v255                        // 000000004F00: 7E68B5FF
	v_max_f32_e32 v255, v52, v255                              // 000000004F04: 17FFFF34
	v_mov_b32_e32 v52, v255                                    // 000000004F08: 7E6803FF
	s_nop 1                                                    // 000000004F0C: BF800001
	v_permlane16_swap_b32_e32 v52, v255                        // 000000004F10: 7E68B3FF
	v_max_f32_e32 v255, v52, v255                              // 000000004F14: 17FFFF34
	v_max_f32_e32 v128, v254, v128                             // 000000004F18: 170101FE
	v_max_f32_e32 v129, v255, v129                             // 000000004F1C: 170303FF
	v_rcp_f32_e32 v128, v128                                   // 000000004F20: 7F004580
	v_rcp_f32_e32 v129, v129                                   // 000000004F24: 7F024581
	v_mov_b32_e32 v52, 0x43e00000                              // 000000004F28: 7E6802FF 43E00000
	v_mul_f32_e32 v128, v52, v128                              // 000000004F30: 0B010134
	v_mul_f32_e32 v129, v52, v129                              // 000000004F34: 0B030334
	v_mul_f32_e32 v64, v128, v64                               // 000000004F38: 0A808180
	v_mul_f32_e32 v65, v128, v65                               // 000000004F3C: 0A828380
	v_mul_f32_e32 v66, v128, v66                               // 000000004F40: 0A848580
	v_mul_f32_e32 v67, v128, v67                               // 000000004F44: 0A868780
	v_cvt_pk_fp8_f32 v64, v64, v65                             // 000000004F48: D2A20040 00028340
	v_cvt_pk_fp8_f32 v64, v66, v67 op_sel:[0,0,1]              // 000000004F50: D2A24040 00028742
	v_mul_f32_e32 v68, v129, v68                               // 000000004F58: 0A888981
	v_mul_f32_e32 v69, v129, v69                               // 000000004F5C: 0A8A8B81
	v_mul_f32_e32 v70, v129, v70                               // 000000004F60: 0A8C8D81
	v_mul_f32_e32 v71, v129, v71                               // 000000004F64: 0A8E8F81
	v_cvt_pk_fp8_f32 v65, v68, v69                             // 000000004F68: D2A20041 00028B44
	v_cvt_pk_fp8_f32 v65, v70, v71 op_sel:[0,0,1]              // 000000004F70: D2A24041 00028F46
	v_mul_f32_e32 v72, v128, v72                               // 000000004F78: 0A909180
	v_mul_f32_e32 v73, v128, v73                               // 000000004F7C: 0A929380
	v_mul_f32_e32 v74, v128, v74                               // 000000004F80: 0A949580
	v_mul_f32_e32 v75, v128, v75                               // 000000004F84: 0A969780
	v_cvt_pk_fp8_f32 v66, v72, v73                             // 000000004F88: D2A20042 00029348
	v_cvt_pk_fp8_f32 v66, v74, v75 op_sel:[0,0,1]              // 000000004F90: D2A24042 0002974A
	v_mul_f32_e32 v76, v129, v76                               // 000000004F98: 0A989981
	v_mul_f32_e32 v77, v129, v77                               // 000000004F9C: 0A9A9B81
	v_mul_f32_e32 v78, v129, v78                               // 000000004FA0: 0A9C9D81
	v_mul_f32_e32 v79, v129, v79                               // 000000004FA4: 0A9E9F81
	v_cvt_pk_fp8_f32 v67, v76, v77                             // 000000004FA8: D2A20043 00029B4C
	v_cvt_pk_fp8_f32 v67, v78, v79 op_sel:[0,0,1]              // 000000004FB0: D2A24043 00029F4E
	v_rcp_f32_e32 v21, v128                                    // 000000004FB8: 7E2A4580
	v_rcp_f32_e32 v22, v129                                    // 000000004FBC: 7E2C4581
	v_mov_b32_e32 v130, 0x358637bd                             // 000000004FC0: 7F0402FF 358637BD
	v_mov_b32_e32 v131, 0x358637bd                             // 000000004FC8: 7F0602FF 358637BD
	v_max3_f32 v130, |v80|, |v81|, v130                        // 000000004FD0: D1D30382 060AA350
	v_max3_f32 v130, |v82|, |v83|, v130                        // 000000004FD8: D1D30382 060AA752
	v_max3_f32 v131, |v84|, |v85|, v131                        // 000000004FE0: D1D30383 060EAB54
	v_max3_f32 v131, |v86|, |v87|, v131                        // 000000004FE8: D1D30383 060EAF56
	v_max3_f32 v130, |v88|, |v89|, v130                        // 000000004FF0: D1D30382 060AB358
	v_max3_f32 v130, |v90|, |v91|, v130                        // 000000004FF8: D1D30382 060AB75A
	v_max3_f32 v131, |v92|, |v93|, v131                        // 000000005000: D1D30383 060EBB5C
	v_max3_f32 v131, |v94|, |v95|, v131                        // 000000005008: D1D30383 060EBF5E
	v_mov_b32_e32 v52, v130                                    // 000000005010: 7E680382
	s_nop 1                                                    // 000000005014: BF800001
	v_permlane32_swap_b32_e32 v52, v130                        // 000000005018: 7E68B582
	v_max_f32_e32 v130, v52, v130                              // 00000000501C: 17050534
	v_mov_b32_e32 v52, v130                                    // 000000005020: 7E680382
	s_nop 1                                                    // 000000005024: BF800001
	v_permlane16_swap_b32_e32 v52, v130                        // 000000005028: 7E68B382
	v_max_f32_e32 v130, v52, v130                              // 00000000502C: 17050534
	v_mov_b32_e32 v52, v131                                    // 000000005030: 7E680383
	s_nop 1                                                    // 000000005034: BF800001
	v_permlane32_swap_b32_e32 v52, v131                        // 000000005038: 7E68B583
	v_max_f32_e32 v131, v52, v131                              // 00000000503C: 17070734
	v_mov_b32_e32 v52, v131                                    // 000000005040: 7E680383
	s_nop 1                                                    // 000000005044: BF800001
	v_permlane16_swap_b32_e32 v52, v131                        // 000000005048: 7E68B383
	v_max_f32_e32 v131, v52, v131                              // 00000000504C: 17070734
	v_lshlrev_b32_e32 v52, 2, v0                               // 000000005050: 24680082
	s_mul_i32 s56, 64, s7                                      // 000000005054: 923807C0
	v_add_u32_e32 v52, s56, v52                                // 000000005058: 68686838
	s_mov_b32 s56, 0xffff                                      // 00000000505C: BEB800FF 0000FFFF
	s_mov_b32 s57, 0                                           // 000000005064: BEB90080
	s_mov_b64 exec, s[56:57]                                   // 000000005068: BEFE0138
	ds_write_b32 v52, v130 offset:18944                        // 00000000506C: D81A4A00 00008234
	ds_write_b32 v52, v131 offset:19200                        // 000000005074: D81A4B00 00008334
	s_mov_b32 s56, -1                                          // 00000000507C: BEB800C1
	s_mov_b32 s57, -1                                          // 000000005080: BEB900C1
	s_mov_b64 exec, s[56:57]                                   // 000000005084: BEFE0138
	s_waitcnt lgkmcnt(0)                                       // 000000005088: BF8CC07F
	s_barrier                                                  // 00000000508C: BF8A0000
	v_lshlrev_b32_e32 v52, 2, v0                               // 000000005090: 24680082
	ds_read_b32 v254, v52 offset:18944                         // 000000005094: D86C4A00 FE000034
	ds_read_b32 v255, v52 offset:19200                         // 00000000509C: D86C4B00 FF000034
	s_waitcnt lgkmcnt(0)                                       // 0000000050A4: BF8CC07F
	v_mov_b32_e32 v52, v254                                    // 0000000050A8: 7E6803FE
	s_nop 1                                                    // 0000000050AC: BF800001
	v_permlane32_swap_b32_e32 v52, v254                        // 0000000050B0: 7E68B5FE
	v_max_f32_e32 v254, v52, v254                              // 0000000050B4: 17FDFD34
	v_mov_b32_e32 v52, v254                                    // 0000000050B8: 7E6803FE
	s_nop 1                                                    // 0000000050BC: BF800001
	v_permlane16_swap_b32_e32 v52, v254                        // 0000000050C0: 7E68B3FE
	v_max_f32_e32 v254, v52, v254                              // 0000000050C4: 17FDFD34
	v_mov_b32_e32 v52, v255                                    // 0000000050C8: 7E6803FF
	s_nop 1                                                    // 0000000050CC: BF800001
	v_permlane32_swap_b32_e32 v52, v255                        // 0000000050D0: 7E68B5FF
	v_max_f32_e32 v255, v52, v255                              // 0000000050D4: 17FFFF34
	v_mov_b32_e32 v52, v255                                    // 0000000050D8: 7E6803FF
	s_nop 1                                                    // 0000000050DC: BF800001
	v_permlane16_swap_b32_e32 v52, v255                        // 0000000050E0: 7E68B3FF
	v_max_f32_e32 v255, v52, v255                              // 0000000050E4: 17FFFF34
	v_max_f32_e32 v130, v254, v130                             // 0000000050E8: 170505FE
	v_max_f32_e32 v131, v255, v131                             // 0000000050EC: 170707FF
	v_rcp_f32_e32 v130, v130                                   // 0000000050F0: 7F044582
	v_rcp_f32_e32 v131, v131                                   // 0000000050F4: 7F064583
	v_mov_b32_e32 v52, 0x43e00000                              // 0000000050F8: 7E6802FF 43E00000
	v_mul_f32_e32 v130, v52, v130                              // 000000005100: 0B050534
	v_mul_f32_e32 v131, v52, v131                              // 000000005104: 0B070734
	v_mul_f32_e32 v80, v130, v80                               // 000000005108: 0AA0A182
	v_mul_f32_e32 v81, v130, v81                               // 00000000510C: 0AA2A382
	v_mul_f32_e32 v82, v130, v82                               // 000000005110: 0AA4A582
	v_mul_f32_e32 v83, v130, v83                               // 000000005114: 0AA6A782
	v_cvt_pk_fp8_f32 v68, v80, v81                             // 000000005118: D2A20044 0002A350
	v_cvt_pk_fp8_f32 v68, v82, v83 op_sel:[0,0,1]              // 000000005120: D2A24044 0002A752
	v_mul_f32_e32 v84, v131, v84                               // 000000005128: 0AA8A983
	v_mul_f32_e32 v85, v131, v85                               // 00000000512C: 0AAAAB83
	v_mul_f32_e32 v86, v131, v86                               // 000000005130: 0AACAD83
	v_mul_f32_e32 v87, v131, v87                               // 000000005134: 0AAEAF83
	v_cvt_pk_fp8_f32 v69, v84, v85                             // 000000005138: D2A20045 0002AB54
	v_cvt_pk_fp8_f32 v69, v86, v87 op_sel:[0,0,1]              // 000000005140: D2A24045 0002AF56
	v_mul_f32_e32 v88, v130, v88                               // 000000005148: 0AB0B182
	v_mul_f32_e32 v89, v130, v89                               // 00000000514C: 0AB2B382
	v_mul_f32_e32 v90, v130, v90                               // 000000005150: 0AB4B582
	v_mul_f32_e32 v91, v130, v91                               // 000000005154: 0AB6B782
	v_cvt_pk_fp8_f32 v70, v88, v89                             // 000000005158: D2A20046 0002B358
	v_cvt_pk_fp8_f32 v70, v90, v91 op_sel:[0,0,1]              // 000000005160: D2A24046 0002B75A
	v_mul_f32_e32 v92, v131, v92                               // 000000005168: 0AB8B983
	v_mul_f32_e32 v93, v131, v93                               // 00000000516C: 0ABABB83
	v_mul_f32_e32 v94, v131, v94                               // 000000005170: 0ABCBD83
	v_mul_f32_e32 v95, v131, v95                               // 000000005174: 0ABEBF83
	v_cvt_pk_fp8_f32 v71, v92, v93                             // 000000005178: D2A20047 0002BB5C
	v_cvt_pk_fp8_f32 v71, v94, v95 op_sel:[0,0,1]              // 000000005180: D2A24047 0002BF5E
	v_rcp_f32_e32 v23, v130                                    // 000000005188: 7E2E4582
	v_rcp_f32_e32 v24, v131                                    // 00000000518C: 7E304583
	v_lshrrev_b32_e32 v52, 5, v0                               // 000000005190: 20680085
	v_lshlrev_b32_e32 v53, 6, v52                              // 000000005194: 246A6886
	v_and_b32_e32 v52, 31, v0                                  // 000000005198: 2668009F
	v_lshrrev_b32_e32 v54, 4, v52                              // 00000000519C: 206C6884
	v_add_u32_e32 v53, v54, v53                                // 0000000051A0: 686A6B36
	v_and_b32_e32 v52, 15, v0                                  // 0000000051A4: 2668008F
	v_lshlrev_b32_e32 v52, 1, v52                              // 0000000051A8: 24686881
	v_add_u32_e32 v53, v52, v53                                // 0000000051AC: 686A6B34
	v_lshlrev_b32_e32 v52, 2, v53                              // 0000000051B0: 24686A82
	s_mov_b32 s56, 0                                           // 0000000051B4: BEB80080
	s_lshr_b32 s57, s7, 1                                      // 0000000051B8: 8F398107
	s_mul_i32 s57, s57, 0x200                                  // 0000000051BC: 9239FF39 00000200
	s_add_u32 s56, s57, s56                                    // 0000000051C4: 80383839
	s_and_b32 s57, s7, 1                                       // 0000000051C8: 86398107
	s_mul_i32 s57, s57, 0x80                                   // 0000000051CC: 9239FF39 00000080
	s_add_u32 s56, s57, s56                                    // 0000000051D4: 80383839
	v_add_u32_e64 v52, v52, s56                                // 0000000051D8: D1340034 00007134
	ds_write_b32 v52, v64 offset:20992                         // 0000000051E0: D81A5200 00004034
	ds_write_b32 v52, v65 offset:25088                         // 0000000051E8: D81A6200 00004134
	ds_write_b32 v52, v66 offset:22016                         // 0000000051F0: D81A5600 00004234
	ds_write_b32 v52, v67 offset:26112                         // 0000000051F8: D81A6600 00004334
	ds_write_b32 v52, v68 offset:23040                         // 000000005200: D81A5A00 00004434
	ds_write_b32 v52, v69 offset:27136                         // 000000005208: D81A6A00 00004534
	ds_write_b32 v52, v70 offset:24064                         // 000000005210: D81A5E00 00004634
	ds_write_b32 v52, v71 offset:28160                         // 000000005218: D81A6E00 00004734
	s_waitcnt lgkmcnt(0)                                       // 000000005220: BF8CC07F
	s_barrier                                                  // 000000005224: BF8A0000
	v_and_b32_e32 v52, 31, v0                                  // 000000005228: 2668009F
	v_lshrrev_b32_e32 v52, 4, v52                              // 00000000522C: 20686884
	v_lshlrev_b32_e32 v53, 5, v52                              // 000000005230: 246A6885
	v_lshrrev_b32_e32 v52, 5, v0                               // 000000005234: 20680085
	v_lshlrev_b32_e32 v52, 7, v52                              // 000000005238: 24686887
	v_add_u32_e32 v53, v52, v53                                // 00000000523C: 686A6B34
	v_and_b32_e32 v52, 15, v0                                  // 000000005240: 2668008F
	v_lshlrev_b32_e32 v52, 1, v52                              // 000000005244: 24686881
	v_add_u32_e32 v53, v52, v53                                // 000000005248: 686A6B34
	v_lshlrev_b32_e32 v52, 2, v53                              // 00000000524C: 24686A82
	ds_read_b64 a[128:129], v52 offset:20992                   // 000000005250: DAEC5200 80000034
	ds_read_b64 a[130:131], v52 offset:21248                   // 000000005258: DAEC5300 82000034
	ds_read_b64 a[132:133], v52 offset:22016                   // 000000005260: DAEC5600 84000034
	ds_read_b64 a[134:135], v52 offset:22272                   // 000000005268: DAEC5700 86000034
	ds_read_b64 a[136:137], v52 offset:23040                   // 000000005270: DAEC5A00 88000034
	ds_read_b64 a[138:139], v52 offset:23296                   // 000000005278: DAEC5B00 8A000034
	ds_read_b64 a[140:141], v52 offset:24064                   // 000000005280: DAEC5E00 8C000034
	ds_read_b64 a[142:143], v52 offset:24320                   // 000000005288: DAEC5F00 8E000034
	ds_read_b64 a[144:145], v52 offset:25088                   // 000000005290: DAEC6200 90000034
	ds_read_b64 a[146:147], v52 offset:25344                   // 000000005298: DAEC6300 92000034
	ds_read_b64 a[148:149], v52 offset:26112                   // 0000000052A0: DAEC6600 94000034
	ds_read_b64 a[150:151], v52 offset:26368                   // 0000000052A8: DAEC6700 96000034
	ds_read_b64 a[152:153], v52 offset:27136                   // 0000000052B0: DAEC6A00 98000034
	ds_read_b64 a[154:155], v52 offset:27392                   // 0000000052B8: DAEC6B00 9A000034
	ds_read_b64 a[156:157], v52 offset:28160                   // 0000000052C0: DAEC6E00 9C000034
	ds_read_b64 a[158:159], v52 offset:28416                   // 0000000052C8: DAEC6F00 9E000034
	v_lshlrev_b32_e32 v52, 2, v0                               // 0000000052D0: 24680082
	s_mul_i32 s56, s78, s67                                    // 0000000052D4: 9238434E
	v_add_u32_e64 v80, v52, s56                                // 0000000052D8: D1340050 00007134
	v_mov_b32_e32 v81, 0                                       // 0000000052E0: 7EA20280
	s_mul_i32 s56, s79, s67                                    // 0000000052E4: 9238434F
	v_add_u32_e64 v82, v52, s56                                // 0000000052E8: D1340052 00007134
	v_mov_b32_e32 v83, 0                                       // 0000000052F0: 7EA60280
	s_mul_i32 s56, s80, s67                                    // 0000000052F4: 92384350
	v_add_u32_e64 v84, v52, s56                                // 0000000052F8: D1340054 00007134
	v_mov_b32_e32 v85, 0                                       // 000000005300: 7EAA0280
	s_mul_i32 s56, s81, s67                                    // 000000005304: 92384351
	v_add_u32_e64 v86, v52, s56                                // 000000005308: D1340056 00007134
	v_mov_b32_e32 v87, 0                                       // 000000005310: 7EAE0280
	s_mul_i32 s56, s82, s67                                    // 000000005314: 92384352
	v_add_u32_e64 v88, v52, s56                                // 000000005318: D1340058 00007134
	v_mov_b32_e32 v89, 0                                       // 000000005320: 7EB20280
	s_mul_i32 s56, s83, s67                                    // 000000005324: 92384353
	v_add_u32_e64 v90, v52, s56                                // 000000005328: D134005A 00007134
	v_mov_b32_e32 v91, 0                                       // 000000005330: 7EB60280
	s_mul_i32 s56, s84, s67                                    // 000000005334: 92384354
	v_add_u32_e64 v92, v52, s56                                // 000000005338: D134005C 00007134
	v_mov_b32_e32 v93, 0                                       // 000000005340: 7EBA0280
	s_mul_i32 s56, s85, s67                                    // 000000005344: 92384355
	v_add_u32_e64 v94, v52, s56                                // 000000005348: D134005E 00007134
	v_mov_b32_e32 v95, 0                                       // 000000005350: 7EBE0280
	s_add_u32 s12, s52, s12                                    // 000000005354: 800C0C34
	s_addc_u32 s13, 0, s13                                     // 000000005358: 820D0D80
	s_add_u32 s16, s75, s16                                    // 00000000535C: 8010104B
	s_addc_u32 s17, 0, s17                                     // 000000005360: 82111180
	s_waitcnt lgkmcnt(0)                                       // 000000005364: BF8CC07F
	s_barrier                                                  // 000000005368: BF8A0000
	v_mov_b32_e32 v160, 0                                      // 00000000536C: 7F400280
	v_mov_b32_e32 v192, 0                                      // 000000005370: 7F800280
	v_mov_b32_e32 v161, 0                                      // 000000005374: 7F420280
	v_mov_b32_e32 v193, 0                                      // 000000005378: 7F820280
	v_mov_b32_e32 v162, 0                                      // 00000000537C: 7F440280
	v_mov_b32_e32 v194, 0                                      // 000000005380: 7F840280
	v_mov_b32_e32 v163, 0                                      // 000000005384: 7F460280
	v_mov_b32_e32 v195, 0                                      // 000000005388: 7F860280
	v_mov_b32_e32 v164, 0                                      // 00000000538C: 7F480280
	v_mov_b32_e32 v196, 0                                      // 000000005390: 7F880280
	v_mov_b32_e32 v165, 0                                      // 000000005394: 7F4A0280
	v_mov_b32_e32 v197, 0                                      // 000000005398: 7F8A0280
	v_mov_b32_e32 v166, 0                                      // 00000000539C: 7F4C0280
	v_mov_b32_e32 v198, 0                                      // 0000000053A0: 7F8C0280
	v_mov_b32_e32 v167, 0                                      // 0000000053A4: 7F4E0280
	v_mov_b32_e32 v199, 0                                      // 0000000053A8: 7F8E0280
	v_mov_b32_e32 v168, 0                                      // 0000000053AC: 7F500280
	v_mov_b32_e32 v200, 0                                      // 0000000053B0: 7F900280
	v_mov_b32_e32 v169, 0                                      // 0000000053B4: 7F520280
	v_mov_b32_e32 v201, 0                                      // 0000000053B8: 7F920280
	v_mov_b32_e32 v170, 0                                      // 0000000053BC: 7F540280
	v_mov_b32_e32 v202, 0                                      // 0000000053C0: 7F940280
	v_mov_b32_e32 v171, 0                                      // 0000000053C4: 7F560280
	v_mov_b32_e32 v203, 0                                      // 0000000053C8: 7F960280
	v_mov_b32_e32 v172, 0                                      // 0000000053CC: 7F580280
	v_mov_b32_e32 v204, 0                                      // 0000000053D0: 7F980280
	v_mov_b32_e32 v173, 0                                      // 0000000053D4: 7F5A0280
	v_mov_b32_e32 v205, 0                                      // 0000000053D8: 7F9A0280
	v_mov_b32_e32 v174, 0                                      // 0000000053DC: 7F5C0280
	v_mov_b32_e32 v206, 0                                      // 0000000053E0: 7F9C0280
	v_mov_b32_e32 v175, 0                                      // 0000000053E4: 7F5E0280
	v_mov_b32_e32 v207, 0                                      // 0000000053E8: 7F9E0280
	ds_write_b64 v4, v[160:161] offset:20992                   // 0000000053EC: D89A5200 0000A004
	ds_write_b64 v4, v[162:163] offset:29696                   // 0000000053F4: D89A7400 0000A204
	ds_write_b64 v4, v[164:165] offset:23168                   // 0000000053FC: D89A5A80 0000A404
	ds_write_b64 v4, v[166:167] offset:31872                   // 000000005404: D89A7C80 0000A604
	ds_write_b64 v4, v[168:169] offset:25344                   // 00000000540C: D89A6300 0000A804
	ds_write_b64 v4, v[170:171] offset:34048                   // 000000005414: D89A8500 0000AA04
	ds_write_b64 v4, v[172:173] offset:27520                   // 00000000541C: D89A6B80 0000AC04
	ds_write_b64 v4, v[174:175] offset:36224                   // 000000005424: D89A8D80 0000AE04
	s_mov_b32 s76, 0                                           // 00000000542C: BECC0080
	s_waitcnt vmcnt(0) expcnt(0) lgkmcnt(0)                    // 000000005430: BF8C0000

0000000000005434 <label_098D>:
	s_waitcnt vmcnt(28) lgkmcnt(0)                             // 000000005434: BF8C407C
	s_barrier                                                  // 000000005438: BF8A0000
	v_mfma_f32_16x16x128_f8f6f4 v[160:163], a[0:7], a[128:135], 0// 00000000543C: D3AD00A0 1A030100
	ds_read_b32 v64, v6 offset:20992                           // 000000005444: D86C5200 40000006
	ds_read_b32 v65, v6 offset:25344                           // 00000000544C: D86C6300 41000006
	ds_read_b32 v66, v6 offset:21000                           // 000000005454: D86C5208 42000006
	ds_read_b32 v67, v6 offset:25352                           // 00000000545C: D86C6308 43000006
	v_mfma_f32_16x16x128_f8f6f4 v[164:167], a[0:7], a[144:151], 0// 000000005464: D3AD00A4 1A032100
	buffer_load_dwordx4 a[64:67], v43, s[12:15], 0 offen       // 00000000546C: E05C1000 8083402B
	buffer_load_dwordx4 a[68:71], v43, s[12:15], 0 offen offset:1024// 000000005474: E05C1400 8083442B
	v_mfma_f32_16x16x128_f8f6f4 v[168:171], a[8:15], a[128:135], 0// 00000000547C: D3AD00A8 1A030108
	ds_read_b32 v68, v6 offset:21024                           // 000000005484: D86C5220 44000006
	ds_read_b32 v69, v6 offset:25376                           // 00000000548C: D86C6320 45000006
	ds_read_b32 v70, v6 offset:21032                           // 000000005494: D86C5228 46000006
	ds_read_b32 v71, v6 offset:25384                           // 00000000549C: D86C6328 47000006
	v_mfma_f32_16x16x128_f8f6f4 v[172:175], a[8:15], a[144:151], 0// 0000000054A4: D3AD00AC 1A032108
	buffer_load_dwordx4 a[72:75], v44, s[12:15], 0 offen       // 0000000054AC: E05C1000 8083482C
	buffer_load_dwordx4 a[76:79], v44, s[12:15], 0 offen offset:1024// 0000000054B4: E05C1400 80834C2C
	buffer_load_dword v30, v8, s[16:19], 0 offen               // 0000000054BC: E0501000 80041E08
	s_waitcnt vmcnt(29)                                        // 0000000054C4: BF8C4F7D
	v_mfma_f32_16x16x128_f8f6f4 v[176:179], a[16:23], a[128:135], 0// 0000000054C8: D3AD00B0 1A030110
	ds_read_b32 v72, v6 offset:29696                           // 0000000054D0: D86C7400 48000006
	ds_read_b32 v73, v6 offset:34048                           // 0000000054D8: D86C8500 49000006
	ds_read_b32 v74, v6 offset:29704                           // 0000000054E0: D86C7408 4A000006
	ds_read_b32 v75, v6 offset:34056                           // 0000000054E8: D86C8508 4B000006
	v_mfma_f32_16x16x128_f8f6f4 v[180:183], a[16:23], a[144:151], 0// 0000000054F0: D3AD00B4 1A032110
	buffer_load_dwordx4 a[80:83], v45, s[12:15], 0 offen       // 0000000054F8: E05C1000 8083502D
	buffer_load_dwordx4 a[84:87], v45, s[12:15], 0 offen offset:1024// 000000005500: E05C1400 8083542D
	v_mfma_f32_16x16x128_f8f6f4 v[184:187], a[24:31], a[128:135], 0// 000000005508: D3AD00B8 1A030118
	ds_read_b32 v76, v6 offset:29728                           // 000000005510: D86C7420 4C000006
	ds_read_b32 v77, v6 offset:34080                           // 000000005518: D86C8520 4D000006
	ds_read_b32 v78, v6 offset:29736                           // 000000005520: D86C7428 4E000006
	ds_read_b32 v79, v6 offset:34088                           // 000000005528: D86C8528 4F000006
	v_mfma_f32_16x16x128_f8f6f4 v[188:191], a[24:31], a[144:151], 0// 000000005530: D3AD00BC 1A032118
	buffer_load_dwordx4 a[88:91], v46, s[12:15], 0 offen       // 000000005538: E05C1000 8083582E
	buffer_load_dwordx4 a[92:95], v46, s[12:15], 0 offen offset:1024// 000000005540: E05C1400 80835C2E
	s_add_u32 s12, s74, s12                                    // 000000005548: 800C0C4A
	s_addc_u32 s13, 0, s13                                     // 00000000554C: 820D0D80
	v_mul_f32_dpp v52, v29, v21 row_newbcast:0 row_mask:0xf bank_mask:0xf// 000000005550: 0A682AFA FF01501D
	v_mov_b32_e32 v53, v52                                     // 000000005558: 7E6A0334
	v_pk_mul_f32 v[160:161], v[52:53], v[160:161]              // 00000000555C: D3B140A0 18034134
	v_pk_mul_f32 v[162:163], v[52:53], v[162:163]              // 000000005564: D3B140A2 18034534
	v_pk_mul_f32 v[168:169], v[52:53], v[168:169]              // 00000000556C: D3B140A8 18035134
	v_pk_mul_f32 v[170:171], v[52:53], v[170:171]              // 000000005574: D3B140AA 18035534
	v_mul_f32_dpp v52, v29, v21 row_newbcast:1 row_mask:0xf bank_mask:0xf// 00000000557C: 0A682AFA FF01511D
	v_mov_b32_e32 v53, v52                                     // 000000005584: 7E6A0334
	v_pk_mul_f32 v[176:177], v[52:53], v[176:177]              // 000000005588: D3B140B0 18036134
	v_pk_mul_f32 v[178:179], v[52:53], v[178:179]              // 000000005590: D3B140B2 18036534
	v_pk_mul_f32 v[184:185], v[52:53], v[184:185]              // 000000005598: D3B140B8 18037134
	v_pk_mul_f32 v[186:187], v[52:53], v[186:187]              // 0000000055A0: D3B140BA 18037534
	v_mul_f32_dpp v52, v29, v22 row_newbcast:0 row_mask:0xf bank_mask:0xf// 0000000055A8: 0A682CFA FF01501D
	v_mov_b32_e32 v53, v52                                     // 0000000055B0: 7E6A0334
	v_pk_mul_f32 v[164:165], v[52:53], v[164:165]              // 0000000055B4: D3B140A4 18034934
	v_pk_mul_f32 v[166:167], v[52:53], v[166:167]              // 0000000055BC: D3B140A6 18034D34
	v_pk_mul_f32 v[172:173], v[52:53], v[172:173]              // 0000000055C4: D3B140AC 18035934
	v_pk_mul_f32 v[174:175], v[52:53], v[174:175]              // 0000000055CC: D3B140AE 18035D34
	v_mul_f32_dpp v52, v29, v22 row_newbcast:1 row_mask:0xf bank_mask:0xf// 0000000055D4: 0A682CFA FF01511D
	v_mov_b32_e32 v53, v52                                     // 0000000055DC: 7E6A0334
	v_pk_mul_f32 v[180:181], v[52:53], v[180:181]              // 0000000055E0: D3B140B4 18036934
	v_pk_mul_f32 v[182:183], v[52:53], v[182:183]              // 0000000055E8: D3B140B6 18036D34
	v_pk_mul_f32 v[188:189], v[52:53], v[188:189]              // 0000000055F0: D3B140BC 18037934
	v_pk_mul_f32 v[190:191], v[52:53], v[190:191]              // 0000000055F8: D3B140BE 18037D34
	s_waitcnt vmcnt(29)                                        // 000000005600: BF8C4F7D
	v_mfma_f32_16x16x128_f8f6f4 v[128:131], a[32:39], a[136:143], 0// 000000005604: D3AD0080 1A031120
	ds_write_b64 v4, v[192:193] offset:38400                   // 00000000560C: D89A9600 0000C004
	ds_write_b64 v4, v[194:195] offset:47104                   // 000000005614: D89AB800 0000C204
	v_mfma_f32_16x16x128_f8f6f4 v[132:135], a[32:39], a[152:159], 0// 00000000561C: D3AD0084 1A033120
	buffer_load_dwordx4 a[96:99], v43, s[12:15], 0 offen       // 000000005624: E05C1000 8083602B
	buffer_load_dwordx4 a[100:103], v43, s[12:15], 0 offen offset:1024// 00000000562C: E05C1400 8083642B
	v_mfma_f32_16x16x128_f8f6f4 v[136:139], a[40:47], a[136:143], 0// 000000005634: D3AD0088 1A031128
	ds_write_b64 v4, v[196:197] offset:40576                   // 00000000563C: D89A9E80 0000C404
	ds_write_b64 v4, v[198:199] offset:49280                   // 000000005644: D89AC080 0000C604
	v_mfma_f32_16x16x128_f8f6f4 v[140:143], a[40:47], a[152:159], 0// 00000000564C: D3AD008C 1A033128
	buffer_load_dwordx4 a[104:107], v44, s[12:15], 0 offen     // 000000005654: E05C1000 8083682C
	buffer_load_dwordx4 a[108:111], v44, s[12:15], 0 offen offset:1024// 00000000565C: E05C1400 80836C2C
	s_waitcnt vmcnt(29)                                        // 000000005664: BF8C4F7D
	v_mfma_f32_16x16x128_f8f6f4 v[144:147], a[48:55], a[136:143], 0// 000000005668: D3AD0090 1A031130
	ds_write_b64 v4, v[200:201] offset:42752                   // 000000005670: D89AA700 0000C804
	ds_write_b64 v4, v[202:203] offset:51456                   // 000000005678: D89AC900 0000CA04
	v_mfma_f32_16x16x128_f8f6f4 v[148:151], a[48:55], a[152:159], 0// 000000005680: D3AD0094 1A033130
	buffer_load_dwordx4 a[112:115], v45, s[12:15], 0 offen     // 000000005688: E05C1000 8083702D
	buffer_load_dwordx4 a[116:119], v45, s[12:15], 0 offen offset:1024// 000000005690: E05C1400 8083742D
	v_mfma_f32_16x16x128_f8f6f4 v[152:155], a[56:63], a[136:143], 0// 000000005698: D3AD0098 1A031138
	ds_write_b64 v4, v[204:205] offset:44928                   // 0000000056A0: D89AAF80 0000CC04
	ds_write_b64 v4, v[206:207] offset:53632                   // 0000000056A8: D89AD180 0000CE04
	v_mfma_f32_16x16x128_f8f6f4 v[156:159], a[56:63], a[152:159], 0// 0000000056B0: D3AD009C 1A033138
	buffer_load_dwordx4 a[120:123], v46, s[12:15], 0 offen     // 0000000056B8: E05C1000 8083782E
	buffer_load_dwordx4 a[124:127], v46, s[12:15], 0 offen offset:1024// 0000000056C0: E05C1400 80837C2E
	v_mul_f32_dpp v52, v29, v23 row_newbcast:2 row_mask:0xf bank_mask:0xf// 0000000056C8: 0A682EFA FF01521D
	v_mov_b32_e32 v53, v52                                     // 0000000056D0: 7E6A0334
	v_pk_fma_f32 v[160:161], v[128:129], v[52:53], v[160:161]  // 0000000056D4: D3B040A0 1E826980
	v_pk_fma_f32 v[162:163], v[130:131], v[52:53], v[162:163]  // 0000000056DC: D3B040A2 1E8A6982
	v_pk_fma_f32 v[168:169], v[136:137], v[52:53], v[168:169]  // 0000000056E4: D3B040A8 1EA26988
	v_pk_fma_f32 v[170:171], v[138:139], v[52:53], v[170:171]  // 0000000056EC: D3B040AA 1EAA698A
	v_mul_f32_dpp v52, v29, v23 row_newbcast:3 row_mask:0xf bank_mask:0xf// 0000000056F4: 0A682EFA FF01531D
	v_mov_b32_e32 v53, v52                                     // 0000000056FC: 7E6A0334
	v_pk_fma_f32 v[176:177], v[144:145], v[52:53], v[176:177]  // 000000005700: D3B040B0 1EC26990
	v_pk_fma_f32 v[178:179], v[146:147], v[52:53], v[178:179]  // 000000005708: D3B040B2 1ECA6992
	v_pk_fma_f32 v[184:185], v[152:153], v[52:53], v[184:185]  // 000000005710: D3B040B8 1EE26998
	v_pk_fma_f32 v[186:187], v[154:155], v[52:53], v[186:187]  // 000000005718: D3B040BA 1EEA699A
	v_mul_f32_dpp v52, v29, v24 row_newbcast:2 row_mask:0xf bank_mask:0xf// 000000005720: 0A6830FA FF01521D
	v_mov_b32_e32 v53, v52                                     // 000000005728: 7E6A0334
	v_pk_fma_f32 v[164:165], v[132:133], v[52:53], v[164:165]  // 00000000572C: D3B040A4 1E926984
	v_pk_fma_f32 v[166:167], v[134:135], v[52:53], v[166:167]  // 000000005734: D3B040A6 1E9A6986
	v_pk_fma_f32 v[172:173], v[140:141], v[52:53], v[172:173]  // 00000000573C: D3B040AC 1EB2698C
	v_pk_fma_f32 v[174:175], v[142:143], v[52:53], v[174:175]  // 000000005744: D3B040AE 1EBA698E
	v_mul_f32_dpp v52, v29, v24 row_newbcast:3 row_mask:0xf bank_mask:0xf// 00000000574C: 0A6830FA FF01531D
	v_mov_b32_e32 v53, v52                                     // 000000005754: 7E6A0334
	v_pk_fma_f32 v[180:181], v[148:149], v[52:53], v[180:181]  // 000000005758: D3B040B4 1ED26994
	v_pk_fma_f32 v[182:183], v[150:151], v[52:53], v[182:183]  // 000000005760: D3B040B6 1EDA6996
	v_pk_fma_f32 v[188:189], v[156:157], v[52:53], v[188:189]  // 000000005768: D3B040BC 1EF2699C
	v_pk_fma_f32 v[190:191], v[158:159], v[52:53], v[190:191]  // 000000005770: D3B040BE 1EFA699E
	s_add_u32 s56, 0x200, s76                                  // 000000005778: 80384CFF 00000200
	s_cmp_lt_u32 s56, s77                                      // 000000005780: BF0A4D38
	s_cselect_b32 s52, s52, 0                                  // 000000005784: 85348034
	s_cselect_b32 s74, s74, 0                                  // 000000005788: 854A804A
	s_cselect_b32 s75, s75, 0                                  // 00000000578C: 854B804B
	s_add_u32 s12, s52, s12                                    // 000000005790: 800C0C34
	s_addc_u32 s13, 0, s13                                     // 000000005794: 820D0D80
	s_add_u32 s16, s75, s16                                    // 000000005798: 8010104B
	s_addc_u32 s17, 0, s17                                     // 00000000579C: 82111180
	v_mov_b32_e32 v52, v31                                     // 0000000057A0: 7E68031F
	v_mov_b32_e32 v53, v31                                     // 0000000057A4: 7E6A031F
	v_pk_mul_f32 v[160:161], v[52:53], v[160:161]              // 0000000057A8: D3B140A0 18034134
	v_pk_mul_f32 v[162:163], v[52:53], v[162:163]              // 0000000057B0: D3B140A2 18034534
	v_pk_mul_f32 v[168:169], v[52:53], v[168:169]              // 0000000057B8: D3B140A8 18035134
	v_pk_mul_f32 v[170:171], v[52:53], v[170:171]              // 0000000057C0: D3B140AA 18035534
	v_pk_mul_f32 v[176:177], v[52:53], v[176:177]              // 0000000057C8: D3B140B0 18036134
	v_pk_mul_f32 v[178:179], v[52:53], v[178:179]              // 0000000057D0: D3B140B2 18036534
	v_pk_mul_f32 v[184:185], v[52:53], v[184:185]              // 0000000057D8: D3B140B8 18037134
	v_pk_mul_f32 v[186:187], v[52:53], v[186:187]              // 0000000057E0: D3B140BA 18037534
	v_mov_b32_e32 v52, v32                                     // 0000000057E8: 7E680320
	v_mov_b32_e32 v53, v32                                     // 0000000057EC: 7E6A0320
	v_pk_mul_f32 v[164:165], v[52:53], v[164:165]              // 0000000057F0: D3B140A4 18034934
	v_pk_mul_f32 v[166:167], v[52:53], v[166:167]              // 0000000057F8: D3B140A6 18034D34
	v_pk_mul_f32 v[172:173], v[52:53], v[172:173]              // 000000005800: D3B140AC 18035934
	v_pk_mul_f32 v[174:175], v[52:53], v[174:175]              // 000000005808: D3B140AE 18035D34
	v_pk_mul_f32 v[180:181], v[52:53], v[180:181]              // 000000005810: D3B140B4 18036934
	v_pk_mul_f32 v[182:183], v[52:53], v[182:183]              // 000000005818: D3B140B6 18036D34
	v_pk_mul_f32 v[188:189], v[52:53], v[188:189]              // 000000005820: D3B140BC 18037934
	v_pk_mul_f32 v[190:191], v[52:53], v[190:191]              // 000000005828: D3B140BE 18037D34
	v_cvt_pk_bf16_f32 v160, v160, v161                         // 000000005830: D26800A0 000343A0
	v_cvt_pk_bf16_f32 v161, v162, v163                         // 000000005838: D26800A1 000347A2
	v_cvt_pk_bf16_f32 v162, v164, v165                         // 000000005840: D26800A2 00034BA4
	v_cvt_pk_bf16_f32 v163, v166, v167                         // 000000005848: D26800A3 00034FA6
	v_cvt_pk_bf16_f32 v164, v168, v169                         // 000000005850: D26800A4 000353A8
	v_cvt_pk_bf16_f32 v165, v170, v171                         // 000000005858: D26800A5 000357AA
	v_cvt_pk_bf16_f32 v166, v172, v173                         // 000000005860: D26800A6 00035BAC
	v_cvt_pk_bf16_f32 v167, v174, v175                         // 000000005868: D26800A7 00035FAE
	v_cvt_pk_bf16_f32 v168, v176, v177                         // 000000005870: D26800A8 000363B0
	v_cvt_pk_bf16_f32 v169, v178, v179                         // 000000005878: D26800A9 000367B2
	v_cvt_pk_bf16_f32 v170, v180, v181                         // 000000005880: D26800AA 00036BB4
	v_cvt_pk_bf16_f32 v171, v182, v183                         // 000000005888: D26800AB 00036FB6
	v_cvt_pk_bf16_f32 v172, v184, v185                         // 000000005890: D26800AC 000373B8
	v_cvt_pk_bf16_f32 v173, v186, v187                         // 000000005898: D26800AD 000377BA
	v_cvt_pk_bf16_f32 v174, v188, v189                         // 0000000058A0: D26800AE 00037BBC
	v_cvt_pk_bf16_f32 v175, v190, v191                         // 0000000058A8: D26800AF 00037FBE
	s_cmp_ge_u32 s76, 0x200                                    // 0000000058B0: BF09FF4C 00000200
	s_cselect_b32 s55, 0x200, s55                              // 0000000058B8: 853737FF 00000200
	s_mov_b64 exec, s[20:21]                                   // 0000000058C0: BEFE0114
	global_atomic_pk_add_bf16 v80, v64, s[8:9]                 // 0000000058C4: DD488000 00084050
	s_mov_b64 exec, s[36:37]                                   // 0000000058CC: BEFE0124
	s_mov_b64 exec, s[20:21]                                   // 0000000058D0: BEFE0114
	global_atomic_pk_add_bf16 v80, v65, s[8:9] offset:256      // 0000000058D4: DD488100 00084150
	s_mov_b64 exec, s[36:37]                                   // 0000000058DC: BEFE0124
	s_mov_b64 exec, s[22:23]                                   // 0000000058E0: BEFE0116
	global_atomic_pk_add_bf16 v82, v66, s[8:9]                 // 0000000058E4: DD488000 00084252
	s_mov_b64 exec, s[36:37]                                   // 0000000058EC: BEFE0124
	s_mov_b64 exec, s[22:23]                                   // 0000000058F0: BEFE0116
	global_atomic_pk_add_bf16 v82, v67, s[8:9] offset:256      // 0000000058F4: DD488100 00084352
	s_mov_b64 exec, s[36:37]                                   // 0000000058FC: BEFE0124
	s_mov_b64 exec, s[24:25]                                   // 000000005900: BEFE0118
	global_atomic_pk_add_bf16 v84, v68, s[8:9]                 // 000000005904: DD488000 00084454
	s_mov_b64 exec, s[36:37]                                   // 00000000590C: BEFE0124
	s_mov_b64 exec, s[24:25]                                   // 000000005910: BEFE0118
	global_atomic_pk_add_bf16 v84, v69, s[8:9] offset:256      // 000000005914: DD488100 00084554
	s_mov_b64 exec, s[36:37]                                   // 00000000591C: BEFE0124
	s_mov_b64 exec, s[26:27]                                   // 000000005920: BEFE011A
	global_atomic_pk_add_bf16 v86, v70, s[8:9]                 // 000000005924: DD488000 00084656
	s_mov_b64 exec, s[36:37]                                   // 00000000592C: BEFE0124
	s_mov_b64 exec, s[26:27]                                   // 000000005930: BEFE011A
	global_atomic_pk_add_bf16 v86, v71, s[8:9] offset:256      // 000000005934: DD488100 00084756
	s_mov_b64 exec, s[36:37]                                   // 00000000593C: BEFE0124
	s_mov_b64 exec, s[28:29]                                   // 000000005940: BEFE011C
	global_atomic_pk_add_bf16 v88, v72, s[8:9]                 // 000000005944: DD488000 00084858
	s_mov_b64 exec, s[36:37]                                   // 00000000594C: BEFE0124
	s_mov_b64 exec, s[28:29]                                   // 000000005950: BEFE011C
	global_atomic_pk_add_bf16 v88, v73, s[8:9] offset:256      // 000000005954: DD488100 00084958
	s_mov_b64 exec, s[36:37]                                   // 00000000595C: BEFE0124
	s_mov_b64 exec, s[30:31]                                   // 000000005960: BEFE011E
	global_atomic_pk_add_bf16 v90, v74, s[8:9]                 // 000000005964: DD488000 00084A5A
	s_mov_b64 exec, s[36:37]                                   // 00000000596C: BEFE0124
	s_mov_b64 exec, s[30:31]                                   // 000000005970: BEFE011E
	global_atomic_pk_add_bf16 v90, v75, s[8:9] offset:256      // 000000005974: DD488100 00084B5A
	s_mov_b64 exec, s[36:37]                                   // 00000000597C: BEFE0124
	s_mov_b64 exec, s[32:33]                                   // 000000005980: BEFE0120
	global_atomic_pk_add_bf16 v92, v76, s[8:9]                 // 000000005984: DD488000 00084C5C
	s_mov_b64 exec, s[36:37]                                   // 00000000598C: BEFE0124
	s_mov_b64 exec, s[32:33]                                   // 000000005990: BEFE0120
	global_atomic_pk_add_bf16 v92, v77, s[8:9] offset:256      // 000000005994: DD488100 00084D5C
	s_mov_b64 exec, s[36:37]                                   // 00000000599C: BEFE0124
	s_mov_b64 exec, s[34:35]                                   // 0000000059A0: BEFE0122
	global_atomic_pk_add_bf16 v94, v78, s[8:9]                 // 0000000059A4: DD488000 00084E5E
	s_mov_b64 exec, s[36:37]                                   // 0000000059AC: BEFE0124
	s_mov_b64 exec, s[34:35]                                   // 0000000059B0: BEFE0122
	global_atomic_pk_add_bf16 v94, v79, s[8:9] offset:256      // 0000000059B4: DD488100 00084F5E
	s_mov_b64 exec, s[36:37]                                   // 0000000059BC: BEFE0124
	s_add_u32 s8, s55, s8                                      // 0000000059C0: 80080837
	s_addc_u32 s9, 0, s9                                       // 0000000059C4: 82090980
	s_addk_i32 s76, 0x100                                      // 0000000059C8: B74C0100
	s_cmp_lt_i32 s76, s77                                      // 0000000059CC: BF044D4C
	s_cbranch_scc0 label_0C5E                                  // 0000000059D0: BF840169
	s_waitcnt vmcnt(28) lgkmcnt(0)                             // 0000000059D4: BF8C407C
	s_barrier                                                  // 0000000059D8: BF8A0000
	v_mfma_f32_16x16x128_f8f6f4 v[192:195], a[64:71], a[128:135], 0// 0000000059DC: D3AD00C0 1A030140
	ds_read_b32 v64, v6 offset:38400                           // 0000000059E4: D86C9600 40000006
	ds_read_b32 v65, v6 offset:42752                           // 0000000059EC: D86CA700 41000006
	ds_read_b32 v66, v6 offset:38408                           // 0000000059F4: D86C9608 42000006
	ds_read_b32 v67, v6 offset:42760                           // 0000000059FC: D86CA708 43000006
	v_mfma_f32_16x16x128_f8f6f4 v[196:199], a[64:71], a[144:151], 0// 000000005A04: D3AD00C4 1A032140
	buffer_load_dwordx4 a[0:3], v43, s[12:15], 0 offen         // 000000005A0C: E05C1000 8083002B
	buffer_load_dwordx4 a[4:7], v43, s[12:15], 0 offen offset:1024// 000000005A14: E05C1400 8083042B
	v_mfma_f32_16x16x128_f8f6f4 v[200:203], a[72:79], a[128:135], 0// 000000005A1C: D3AD00C8 1A030148
	ds_read_b32 v68, v6 offset:38432                           // 000000005A24: D86C9620 44000006
	ds_read_b32 v69, v6 offset:42784                           // 000000005A2C: D86CA720 45000006
	ds_read_b32 v70, v6 offset:38440                           // 000000005A34: D86C9628 46000006
	ds_read_b32 v71, v6 offset:42792                           // 000000005A3C: D86CA728 47000006
	v_mfma_f32_16x16x128_f8f6f4 v[204:207], a[72:79], a[144:151], 0// 000000005A44: D3AD00CC 1A032148
	buffer_load_dwordx4 a[8:11], v44, s[12:15], 0 offen        // 000000005A4C: E05C1000 8083082C
	buffer_load_dwordx4 a[12:15], v44, s[12:15], 0 offen offset:1024// 000000005A54: E05C1400 80830C2C
	buffer_load_dword v29, v8, s[16:19], 0 offen               // 000000005A5C: E0501000 80041D08
	s_waitcnt vmcnt(29)                                        // 000000005A64: BF8C4F7D
	v_mfma_f32_16x16x128_f8f6f4 v[208:211], a[80:87], a[128:135], 0// 000000005A68: D3AD00D0 1A030150
	ds_read_b32 v72, v6 offset:47104                           // 000000005A70: D86CB800 48000006
	ds_read_b32 v73, v6 offset:51456                           // 000000005A78: D86CC900 49000006
	ds_read_b32 v74, v6 offset:47112                           // 000000005A80: D86CB808 4A000006
	ds_read_b32 v75, v6 offset:51464                           // 000000005A88: D86CC908 4B000006
	v_mfma_f32_16x16x128_f8f6f4 v[212:215], a[80:87], a[144:151], 0// 000000005A90: D3AD00D4 1A032150
	buffer_load_dwordx4 a[16:19], v45, s[12:15], 0 offen       // 000000005A98: E05C1000 8083102D
	buffer_load_dwordx4 a[20:23], v45, s[12:15], 0 offen offset:1024// 000000005AA0: E05C1400 8083142D
	v_mfma_f32_16x16x128_f8f6f4 v[216:219], a[88:95], a[128:135], 0// 000000005AA8: D3AD00D8 1A030158
	ds_read_b32 v76, v6 offset:47136                           // 000000005AB0: D86CB820 4C000006
	ds_read_b32 v77, v6 offset:51488                           // 000000005AB8: D86CC920 4D000006
	ds_read_b32 v78, v6 offset:47144                           // 000000005AC0: D86CB828 4E000006
	ds_read_b32 v79, v6 offset:51496                           // 000000005AC8: D86CC928 4F000006
	v_mfma_f32_16x16x128_f8f6f4 v[220:223], a[88:95], a[144:151], 0// 000000005AD0: D3AD00DC 1A032158
	buffer_load_dwordx4 a[24:27], v46, s[12:15], 0 offen       // 000000005AD8: E05C1000 8083182E
	buffer_load_dwordx4 a[28:31], v46, s[12:15], 0 offen offset:1024// 000000005AE0: E05C1400 80831C2E
	s_add_u32 s12, s74, s12                                    // 000000005AE8: 800C0C4A
	s_addc_u32 s13, 0, s13                                     // 000000005AEC: 820D0D80
	v_mul_f32_dpp v52, v30, v21 row_newbcast:0 row_mask:0xf bank_mask:0xf// 000000005AF0: 0A682AFA FF01501E
	v_mov_b32_e32 v53, v52                                     // 000000005AF8: 7E6A0334
	v_pk_mul_f32 v[192:193], v[52:53], v[192:193]              // 000000005AFC: D3B140C0 18038134
	v_pk_mul_f32 v[194:195], v[52:53], v[194:195]              // 000000005B04: D3B140C2 18038534
	v_pk_mul_f32 v[200:201], v[52:53], v[200:201]              // 000000005B0C: D3B140C8 18039134
	v_pk_mul_f32 v[202:203], v[52:53], v[202:203]              // 000000005B14: D3B140CA 18039534
	v_mul_f32_dpp v52, v30, v21 row_newbcast:1 row_mask:0xf bank_mask:0xf// 000000005B1C: 0A682AFA FF01511E
	v_mov_b32_e32 v53, v52                                     // 000000005B24: 7E6A0334
	v_pk_mul_f32 v[208:209], v[52:53], v[208:209]              // 000000005B28: D3B140D0 1803A134
	v_pk_mul_f32 v[210:211], v[52:53], v[210:211]              // 000000005B30: D3B140D2 1803A534
	v_pk_mul_f32 v[216:217], v[52:53], v[216:217]              // 000000005B38: D3B140D8 1803B134
	v_pk_mul_f32 v[218:219], v[52:53], v[218:219]              // 000000005B40: D3B140DA 1803B534
	v_mul_f32_dpp v52, v30, v22 row_newbcast:0 row_mask:0xf bank_mask:0xf// 000000005B48: 0A682CFA FF01501E
	v_mov_b32_e32 v53, v52                                     // 000000005B50: 7E6A0334
	v_pk_mul_f32 v[196:197], v[52:53], v[196:197]              // 000000005B54: D3B140C4 18038934
	v_pk_mul_f32 v[198:199], v[52:53], v[198:199]              // 000000005B5C: D3B140C6 18038D34
	v_pk_mul_f32 v[204:205], v[52:53], v[204:205]              // 000000005B64: D3B140CC 18039934
	v_pk_mul_f32 v[206:207], v[52:53], v[206:207]              // 000000005B6C: D3B140CE 18039D34
	v_mul_f32_dpp v52, v30, v22 row_newbcast:1 row_mask:0xf bank_mask:0xf// 000000005B74: 0A682CFA FF01511E
	v_mov_b32_e32 v53, v52                                     // 000000005B7C: 7E6A0334
	v_pk_mul_f32 v[212:213], v[52:53], v[212:213]              // 000000005B80: D3B140D4 1803A934
	v_pk_mul_f32 v[214:215], v[52:53], v[214:215]              // 000000005B88: D3B140D6 1803AD34
	v_pk_mul_f32 v[220:221], v[52:53], v[220:221]              // 000000005B90: D3B140DC 1803B934
	v_pk_mul_f32 v[222:223], v[52:53], v[222:223]              // 000000005B98: D3B140DE 1803BD34
	s_waitcnt vmcnt(29)                                        // 000000005BA0: BF8C4F7D
	v_mfma_f32_16x16x128_f8f6f4 v[128:131], a[96:103], a[136:143], 0// 000000005BA4: D3AD0080 1A031160
	ds_write_b64 v4, v[160:161] offset:20992                   // 000000005BAC: D89A5200 0000A004
	ds_write_b64 v4, v[162:163] offset:29696                   // 000000005BB4: D89A7400 0000A204
	v_mfma_f32_16x16x128_f8f6f4 v[132:135], a[96:103], a[152:159], 0// 000000005BBC: D3AD0084 1A033160
	buffer_load_dwordx4 a[32:35], v43, s[12:15], 0 offen       // 000000005BC4: E05C1000 8083202B
	buffer_load_dwordx4 a[36:39], v43, s[12:15], 0 offen offset:1024// 000000005BCC: E05C1400 8083242B
	v_mfma_f32_16x16x128_f8f6f4 v[136:139], a[104:111], a[136:143], 0// 000000005BD4: D3AD0088 1A031168
	ds_write_b64 v4, v[164:165] offset:23168                   // 000000005BDC: D89A5A80 0000A404
	ds_write_b64 v4, v[166:167] offset:31872                   // 000000005BE4: D89A7C80 0000A604
	v_mfma_f32_16x16x128_f8f6f4 v[140:143], a[104:111], a[152:159], 0// 000000005BEC: D3AD008C 1A033168
	buffer_load_dwordx4 a[40:43], v44, s[12:15], 0 offen       // 000000005BF4: E05C1000 8083282C
	buffer_load_dwordx4 a[44:47], v44, s[12:15], 0 offen offset:1024// 000000005BFC: E05C1400 80832C2C
	s_waitcnt vmcnt(29)                                        // 000000005C04: BF8C4F7D
	v_mfma_f32_16x16x128_f8f6f4 v[144:147], a[112:119], a[136:143], 0// 000000005C08: D3AD0090 1A031170
	ds_write_b64 v4, v[168:169] offset:25344                   // 000000005C10: D89A6300 0000A804
	ds_write_b64 v4, v[170:171] offset:34048                   // 000000005C18: D89A8500 0000AA04
	v_mfma_f32_16x16x128_f8f6f4 v[148:151], a[112:119], a[152:159], 0// 000000005C20: D3AD0094 1A033170
	buffer_load_dwordx4 a[48:51], v45, s[12:15], 0 offen       // 000000005C28: E05C1000 8083302D
	buffer_load_dwordx4 a[52:55], v45, s[12:15], 0 offen offset:1024// 000000005C30: E05C1400 8083342D
	v_mfma_f32_16x16x128_f8f6f4 v[152:155], a[120:127], a[136:143], 0// 000000005C38: D3AD0098 1A031178
	ds_write_b64 v4, v[172:173] offset:27520                   // 000000005C40: D89A6B80 0000AC04
	ds_write_b64 v4, v[174:175] offset:36224                   // 000000005C48: D89A8D80 0000AE04
	v_mfma_f32_16x16x128_f8f6f4 v[156:159], a[120:127], a[152:159], 0// 000000005C50: D3AD009C 1A033178
	buffer_load_dwordx4 a[56:59], v46, s[12:15], 0 offen       // 000000005C58: E05C1000 8083382E
	buffer_load_dwordx4 a[60:63], v46, s[12:15], 0 offen offset:1024// 000000005C60: E05C1400 80833C2E
	v_mul_f32_dpp v52, v30, v23 row_newbcast:2 row_mask:0xf bank_mask:0xf// 000000005C68: 0A682EFA FF01521E
	v_mov_b32_e32 v53, v52                                     // 000000005C70: 7E6A0334
	v_pk_fma_f32 v[192:193], v[128:129], v[52:53], v[192:193]  // 000000005C74: D3B040C0 1F026980
	v_pk_fma_f32 v[194:195], v[130:131], v[52:53], v[194:195]  // 000000005C7C: D3B040C2 1F0A6982
	v_pk_fma_f32 v[200:201], v[136:137], v[52:53], v[200:201]  // 000000005C84: D3B040C8 1F226988
	v_pk_fma_f32 v[202:203], v[138:139], v[52:53], v[202:203]  // 000000005C8C: D3B040CA 1F2A698A
	v_mul_f32_dpp v52, v30, v23 row_newbcast:3 row_mask:0xf bank_mask:0xf// 000000005C94: 0A682EFA FF01531E
	v_mov_b32_e32 v53, v52                                     // 000000005C9C: 7E6A0334
	v_pk_fma_f32 v[208:209], v[144:145], v[52:53], v[208:209]  // 000000005CA0: D3B040D0 1F426990
	v_pk_fma_f32 v[210:211], v[146:147], v[52:53], v[210:211]  // 000000005CA8: D3B040D2 1F4A6992
	v_pk_fma_f32 v[216:217], v[152:153], v[52:53], v[216:217]  // 000000005CB0: D3B040D8 1F626998
	v_pk_fma_f32 v[218:219], v[154:155], v[52:53], v[218:219]  // 000000005CB8: D3B040DA 1F6A699A
	v_mul_f32_dpp v52, v30, v24 row_newbcast:2 row_mask:0xf bank_mask:0xf// 000000005CC0: 0A6830FA FF01521E
	v_mov_b32_e32 v53, v52                                     // 000000005CC8: 7E6A0334
	v_pk_fma_f32 v[196:197], v[132:133], v[52:53], v[196:197]  // 000000005CCC: D3B040C4 1F126984
	v_pk_fma_f32 v[198:199], v[134:135], v[52:53], v[198:199]  // 000000005CD4: D3B040C6 1F1A6986
	v_pk_fma_f32 v[204:205], v[140:141], v[52:53], v[204:205]  // 000000005CDC: D3B040CC 1F32698C
	v_pk_fma_f32 v[206:207], v[142:143], v[52:53], v[206:207]  // 000000005CE4: D3B040CE 1F3A698E
	v_mul_f32_dpp v52, v30, v24 row_newbcast:3 row_mask:0xf bank_mask:0xf// 000000005CEC: 0A6830FA FF01531E
	v_mov_b32_e32 v53, v52                                     // 000000005CF4: 7E6A0334
	v_pk_fma_f32 v[212:213], v[148:149], v[52:53], v[212:213]  // 000000005CF8: D3B040D4 1F526994
	v_pk_fma_f32 v[214:215], v[150:151], v[52:53], v[214:215]  // 000000005D00: D3B040D6 1F5A6996
	v_pk_fma_f32 v[220:221], v[156:157], v[52:53], v[220:221]  // 000000005D08: D3B040DC 1F72699C
	v_pk_fma_f32 v[222:223], v[158:159], v[52:53], v[222:223]  // 000000005D10: D3B040DE 1F7A699E
	s_add_u32 s56, 0x200, s76                                  // 000000005D18: 80384CFF 00000200
	s_cmp_lt_u32 s56, s77                                      // 000000005D20: BF0A4D38
	s_cselect_b32 s52, s52, 0                                  // 000000005D24: 85348034
	s_cselect_b32 s74, s74, 0                                  // 000000005D28: 854A804A
	s_cselect_b32 s75, s75, 0                                  // 000000005D2C: 854B804B
	s_add_u32 s12, s52, s12                                    // 000000005D30: 800C0C34
	s_addc_u32 s13, 0, s13                                     // 000000005D34: 820D0D80
	s_add_u32 s16, s75, s16                                    // 000000005D38: 8010104B
	s_addc_u32 s17, 0, s17                                     // 000000005D3C: 82111180
	v_mov_b32_e32 v52, v31                                     // 000000005D40: 7E68031F
	v_mov_b32_e32 v53, v31                                     // 000000005D44: 7E6A031F
	v_pk_mul_f32 v[192:193], v[52:53], v[192:193]              // 000000005D48: D3B140C0 18038134
	v_pk_mul_f32 v[194:195], v[52:53], v[194:195]              // 000000005D50: D3B140C2 18038534
	v_pk_mul_f32 v[200:201], v[52:53], v[200:201]              // 000000005D58: D3B140C8 18039134
	v_pk_mul_f32 v[202:203], v[52:53], v[202:203]              // 000000005D60: D3B140CA 18039534
	v_pk_mul_f32 v[208:209], v[52:53], v[208:209]              // 000000005D68: D3B140D0 1803A134
	v_pk_mul_f32 v[210:211], v[52:53], v[210:211]              // 000000005D70: D3B140D2 1803A534
	v_pk_mul_f32 v[216:217], v[52:53], v[216:217]              // 000000005D78: D3B140D8 1803B134
	v_pk_mul_f32 v[218:219], v[52:53], v[218:219]              // 000000005D80: D3B140DA 1803B534
	v_mov_b32_e32 v52, v32                                     // 000000005D88: 7E680320
	v_mov_b32_e32 v53, v32                                     // 000000005D8C: 7E6A0320
	v_pk_mul_f32 v[196:197], v[52:53], v[196:197]              // 000000005D90: D3B140C4 18038934
	v_pk_mul_f32 v[198:199], v[52:53], v[198:199]              // 000000005D98: D3B140C6 18038D34
	v_pk_mul_f32 v[204:205], v[52:53], v[204:205]              // 000000005DA0: D3B140CC 18039934
	v_pk_mul_f32 v[206:207], v[52:53], v[206:207]              // 000000005DA8: D3B140CE 18039D34
	v_pk_mul_f32 v[212:213], v[52:53], v[212:213]              // 000000005DB0: D3B140D4 1803A934
	v_pk_mul_f32 v[214:215], v[52:53], v[214:215]              // 000000005DB8: D3B140D6 1803AD34
	v_pk_mul_f32 v[220:221], v[52:53], v[220:221]              // 000000005DC0: D3B140DC 1803B934
	v_pk_mul_f32 v[222:223], v[52:53], v[222:223]              // 000000005DC8: D3B140DE 1803BD34
	v_cvt_pk_bf16_f32 v192, v192, v193                         // 000000005DD0: D26800C0 000383C0
	v_cvt_pk_bf16_f32 v193, v194, v195                         // 000000005DD8: D26800C1 000387C2
	v_cvt_pk_bf16_f32 v194, v196, v197                         // 000000005DE0: D26800C2 00038BC4
	v_cvt_pk_bf16_f32 v195, v198, v199                         // 000000005DE8: D26800C3 00038FC6
	v_cvt_pk_bf16_f32 v196, v200, v201                         // 000000005DF0: D26800C4 000393C8
	v_cvt_pk_bf16_f32 v197, v202, v203                         // 000000005DF8: D26800C5 000397CA
	v_cvt_pk_bf16_f32 v198, v204, v205                         // 000000005E00: D26800C6 00039BCC
	v_cvt_pk_bf16_f32 v199, v206, v207                         // 000000005E08: D26800C7 00039FCE
	v_cvt_pk_bf16_f32 v200, v208, v209                         // 000000005E10: D26800C8 0003A3D0
	v_cvt_pk_bf16_f32 v201, v210, v211                         // 000000005E18: D26800C9 0003A7D2
	v_cvt_pk_bf16_f32 v202, v212, v213                         // 000000005E20: D26800CA 0003ABD4
	v_cvt_pk_bf16_f32 v203, v214, v215                         // 000000005E28: D26800CB 0003AFD6
	v_cvt_pk_bf16_f32 v204, v216, v217                         // 000000005E30: D26800CC 0003B3D8
	v_cvt_pk_bf16_f32 v205, v218, v219                         // 000000005E38: D26800CD 0003B7DA
	v_cvt_pk_bf16_f32 v206, v220, v221                         // 000000005E40: D26800CE 0003BBDC
	v_cvt_pk_bf16_f32 v207, v222, v223                         // 000000005E48: D26800CF 0003BFDE
	s_cmp_ge_u32 s76, 0x200                                    // 000000005E50: BF09FF4C 00000200
	s_cselect_b32 s55, 0x200, s55                              // 000000005E58: 853737FF 00000200
	s_mov_b64 exec, s[20:21]                                   // 000000005E60: BEFE0114
	global_atomic_pk_add_bf16 v80, v64, s[8:9]                 // 000000005E64: DD488000 00084050
	s_mov_b64 exec, s[36:37]                                   // 000000005E6C: BEFE0124
	s_mov_b64 exec, s[20:21]                                   // 000000005E70: BEFE0114
	global_atomic_pk_add_bf16 v80, v65, s[8:9] offset:256      // 000000005E74: DD488100 00084150
	s_mov_b64 exec, s[36:37]                                   // 000000005E7C: BEFE0124
	s_mov_b64 exec, s[22:23]                                   // 000000005E80: BEFE0116
	global_atomic_pk_add_bf16 v82, v66, s[8:9]                 // 000000005E84: DD488000 00084252
	s_mov_b64 exec, s[36:37]                                   // 000000005E8C: BEFE0124
	s_mov_b64 exec, s[22:23]                                   // 000000005E90: BEFE0116
	global_atomic_pk_add_bf16 v82, v67, s[8:9] offset:256      // 000000005E94: DD488100 00084352
	s_mov_b64 exec, s[36:37]                                   // 000000005E9C: BEFE0124
	s_mov_b64 exec, s[24:25]                                   // 000000005EA0: BEFE0118
	global_atomic_pk_add_bf16 v84, v68, s[8:9]                 // 000000005EA4: DD488000 00084454
	s_mov_b64 exec, s[36:37]                                   // 000000005EAC: BEFE0124
	s_mov_b64 exec, s[24:25]                                   // 000000005EB0: BEFE0118
	global_atomic_pk_add_bf16 v84, v69, s[8:9] offset:256      // 000000005EB4: DD488100 00084554
	s_mov_b64 exec, s[36:37]                                   // 000000005EBC: BEFE0124
	s_mov_b64 exec, s[26:27]                                   // 000000005EC0: BEFE011A
	global_atomic_pk_add_bf16 v86, v70, s[8:9]                 // 000000005EC4: DD488000 00084656
	s_mov_b64 exec, s[36:37]                                   // 000000005ECC: BEFE0124
	s_mov_b64 exec, s[26:27]                                   // 000000005ED0: BEFE011A
	global_atomic_pk_add_bf16 v86, v71, s[8:9] offset:256      // 000000005ED4: DD488100 00084756
	s_mov_b64 exec, s[36:37]                                   // 000000005EDC: BEFE0124
	s_mov_b64 exec, s[28:29]                                   // 000000005EE0: BEFE011C
	global_atomic_pk_add_bf16 v88, v72, s[8:9]                 // 000000005EE4: DD488000 00084858
	s_mov_b64 exec, s[36:37]                                   // 000000005EEC: BEFE0124
	s_mov_b64 exec, s[28:29]                                   // 000000005EF0: BEFE011C
	global_atomic_pk_add_bf16 v88, v73, s[8:9] offset:256      // 000000005EF4: DD488100 00084958
	s_mov_b64 exec, s[36:37]                                   // 000000005EFC: BEFE0124
	s_mov_b64 exec, s[30:31]                                   // 000000005F00: BEFE011E
	global_atomic_pk_add_bf16 v90, v74, s[8:9]                 // 000000005F04: DD488000 00084A5A
	s_mov_b64 exec, s[36:37]                                   // 000000005F0C: BEFE0124
	s_mov_b64 exec, s[30:31]                                   // 000000005F10: BEFE011E
	global_atomic_pk_add_bf16 v90, v75, s[8:9] offset:256      // 000000005F14: DD488100 00084B5A
	s_mov_b64 exec, s[36:37]                                   // 000000005F1C: BEFE0124
	s_mov_b64 exec, s[32:33]                                   // 000000005F20: BEFE0120
	global_atomic_pk_add_bf16 v92, v76, s[8:9]                 // 000000005F24: DD488000 00084C5C
	s_mov_b64 exec, s[36:37]                                   // 000000005F2C: BEFE0124
	s_mov_b64 exec, s[32:33]                                   // 000000005F30: BEFE0120
	global_atomic_pk_add_bf16 v92, v77, s[8:9] offset:256      // 000000005F34: DD488100 00084D5C
	s_mov_b64 exec, s[36:37]                                   // 000000005F3C: BEFE0124
	s_mov_b64 exec, s[34:35]                                   // 000000005F40: BEFE0122
	global_atomic_pk_add_bf16 v94, v78, s[8:9]                 // 000000005F44: DD488000 00084E5E
	s_mov_b64 exec, s[36:37]                                   // 000000005F4C: BEFE0124
	s_mov_b64 exec, s[34:35]                                   // 000000005F50: BEFE0122
	global_atomic_pk_add_bf16 v94, v79, s[8:9] offset:256      // 000000005F54: DD488100 00084F5E
	s_mov_b64 exec, s[36:37]                                   // 000000005F5C: BEFE0124
	s_add_u32 s8, s55, s8                                      // 000000005F60: 80080837
	s_addc_u32 s9, 0, s9                                       // 000000005F64: 82090980
	s_addk_i32 s76, 0x100                                      // 000000005F68: B74C0100
	s_cmp_lt_i32 s76, s77                                      // 000000005F6C: BF044D4C
	s_cbranch_scc0 label_0C5E                                  // 000000005F70: BF840001
	s_branch label_098D                                        // 000000005F74: BF82FD2F

0000000000005f78 <label_0C5E>:
	s_nop 0                                                    // 000000005F78: BF800000
	s_nop 0                                                    // 000000005F7C: BF800000
	s_branch label_1583                                        // 000000005F80: BF820922

0000000000005f84 <label_0C61>:
	s_waitcnt vmcnt(12) lgkmcnt(0)                             // 000000005F84: BF8C007C
	s_barrier                                                  // 000000005F88: BF8A0000
	v_mfma_f32_16x16x128_f8f6f4 v[128:131], a[0:7], a[128:135], 0// 000000005F8C: D3AD0080 1A030100
	buffer_load_dwordx4 v35, s[20:23], 0 offen lds             // 000000005F94: E05D1000 80050023
	s_add_u32 m0, 0x1080, s49                                  // 000000005F9C: 807C31FF 00001080
	buffer_load_dwordx4 v36, s[20:23], 0 offen lds             // 000000005FA4: E05D1000 80050024
	s_add_u32 m0, m0, s72                                      // 000000005FAC: 807C487C
	buffer_load_dword v9, s[28:31], 0 offen lds                // 000000005FB0: E0511000 80070009
	s_add_u32 m0, 0, s48                                       // 000000005FB8: 807C3080
	buffer_load_dword v30, v19, s[32:35], 0 offen              // 000000005FBC: E0501000 80081E13
	buffer_load_dwordx4 a[64:67], v39, s[96:99], 0 offen       // 000000005FC4: E05C1000 80984027
	buffer_load_dwordx4 a[68:71], v39, s[96:99], 0 offen offset:1024// 000000005FCC: E05C1400 80984427
	v_mfma_f32_16x16x128_f8f6f4 v[132:135], a[0:7], a[144:151], 0// 000000005FD4: D3AD0084 1A032100
	v_mfma_f32_16x16x128_f8f6f4 v[136:139], a[8:15], a[128:135], 0// 000000005FDC: D3AD0088 1A030108
	buffer_load_dwordx4 a[72:75], v40, s[96:99], 0 offen       // 000000005FE4: E05C1000 80984828
	buffer_load_dwordx4 a[76:79], v40, s[96:99], 0 offen offset:1024// 000000005FEC: E05C1400 80984C28
	v_mfma_f32_16x16x128_f8f6f4 v[140:143], a[8:15], a[144:151], 0// 000000005FF4: D3AD008C 1A032108
	s_waitcnt vmcnt(16)                                        // 000000005FFC: BF8C4F70
	v_mfma_f32_16x16x128_f8f6f4 v[144:147], a[16:23], a[128:135], 0// 000000006000: D3AD0090 1A030110
	buffer_load_dwordx4 a[80:83], v41, s[96:99], 0 offen       // 000000006008: E05C1000 80985029
	buffer_load_dwordx4 a[84:87], v41, s[96:99], 0 offen offset:1024// 000000006010: E05C1400 80985429
	v_mfma_f32_16x16x128_f8f6f4 v[148:151], a[16:23], a[144:151], 0// 000000006018: D3AD0094 1A032110
	v_mfma_f32_16x16x128_f8f6f4 v[152:155], a[24:31], a[128:135], 0// 000000006020: D3AD0098 1A030118
	buffer_load_dwordx4 a[88:91], v42, s[96:99], 0 offen       // 000000006028: E05C1000 8098582A
	buffer_load_dwordx4 a[92:95], v42, s[96:99], 0 offen offset:1024// 000000006030: E05C1400 80985C2A
	v_mfma_f32_16x16x128_f8f6f4 v[156:159], a[24:31], a[144:151], 0// 000000006038: D3AD009C 1A032118
	v_mul_f32_dpp v52, v29, v21 row_newbcast:0 row_mask:0xf bank_mask:0xf// 000000006040: 0A682AFA FF01501D
	v_mov_b32_e32 v53, v52                                     // 000000006048: 7E6A0334
	v_pk_fma_f32 v[64:65], v[128:129], v[52:53], v[64:65]      // 00000000604C: D3B04040 1D026980
	v_pk_fma_f32 v[66:67], v[130:131], v[52:53], v[66:67]      // 000000006054: D3B04042 1D0A6982
	v_pk_fma_f32 v[72:73], v[136:137], v[52:53], v[72:73]      // 00000000605C: D3B04048 1D226988
	v_pk_fma_f32 v[74:75], v[138:139], v[52:53], v[74:75]      // 000000006064: D3B0404A 1D2A698A
	v_mul_f32_dpp v52, v29, v21 row_newbcast:1 row_mask:0xf bank_mask:0xf// 00000000606C: 0A682AFA FF01511D
	v_mov_b32_e32 v53, v52                                     // 000000006074: 7E6A0334
	v_pk_fma_f32 v[80:81], v[144:145], v[52:53], v[80:81]      // 000000006078: D3B04050 1D426990
	v_pk_fma_f32 v[82:83], v[146:147], v[52:53], v[82:83]      // 000000006080: D3B04052 1D4A6992
	v_pk_fma_f32 v[88:89], v[152:153], v[52:53], v[88:89]      // 000000006088: D3B04058 1D626998
	v_pk_fma_f32 v[90:91], v[154:155], v[52:53], v[90:91]      // 000000006090: D3B0405A 1D6A699A
	v_mul_f32_dpp v52, v29, v22 row_newbcast:0 row_mask:0xf bank_mask:0xf// 000000006098: 0A682CFA FF01501D
	v_mov_b32_e32 v53, v52                                     // 0000000060A0: 7E6A0334
	v_pk_fma_f32 v[68:69], v[132:133], v[52:53], v[68:69]      // 0000000060A4: D3B04044 1D126984
	v_pk_fma_f32 v[70:71], v[134:135], v[52:53], v[70:71]      // 0000000060AC: D3B04046 1D1A6986
	v_pk_fma_f32 v[76:77], v[140:141], v[52:53], v[76:77]      // 0000000060B4: D3B0404C 1D32698C
	v_pk_fma_f32 v[78:79], v[142:143], v[52:53], v[78:79]      // 0000000060BC: D3B0404E 1D3A698E
	v_mul_f32_dpp v52, v29, v22 row_newbcast:1 row_mask:0xf bank_mask:0xf// 0000000060C4: 0A682CFA FF01511D
	v_mov_b32_e32 v53, v52                                     // 0000000060CC: 7E6A0334
	v_pk_fma_f32 v[84:85], v[148:149], v[52:53], v[84:85]      // 0000000060D0: D3B04054 1D526994
	v_pk_fma_f32 v[86:87], v[150:151], v[52:53], v[86:87]      // 0000000060D8: D3B04056 1D5A6996
	v_pk_fma_f32 v[92:93], v[156:157], v[52:53], v[92:93]      // 0000000060E0: D3B0405C 1D72699C
	v_pk_fma_f32 v[94:95], v[158:159], v[52:53], v[94:95]      // 0000000060E8: D3B0405E 1D7A699E
	s_waitcnt vmcnt(16)                                        // 0000000060F0: BF8C4F70
	v_mfma_f32_16x16x128_f8f6f4 v[128:131], a[32:39], a[136:143], 0// 0000000060F4: D3AD0080 1A031120
	buffer_load_dwordx4 a[96:99], v39, s[96:99], 0 offen offset:2048// 0000000060FC: E05C1800 80986027
	buffer_load_dwordx4 a[100:103], v39, s[96:99], 0 offen offset:3072// 000000006104: E05C1C00 80986427
	v_mfma_f32_16x16x128_f8f6f4 v[132:135], a[32:39], a[152:159], 0// 00000000610C: D3AD0084 1A033120
	v_mfma_f32_16x16x128_f8f6f4 v[136:139], a[40:47], a[136:143], 0// 000000006114: D3AD0088 1A031128
	buffer_load_dwordx4 a[104:107], v40, s[96:99], 0 offen offset:2048// 00000000611C: E05C1800 80986828
	buffer_load_dwordx4 a[108:111], v40, s[96:99], 0 offen offset:3072// 000000006124: E05C1C00 80986C28
	v_mfma_f32_16x16x128_f8f6f4 v[140:143], a[40:47], a[152:159], 0// 00000000612C: D3AD008C 1A033128
	s_waitcnt vmcnt(16)                                        // 000000006134: BF8C4F70
	v_mfma_f32_16x16x128_f8f6f4 v[144:147], a[48:55], a[136:143], 0// 000000006138: D3AD0090 1A031130
	buffer_load_dwordx4 a[112:115], v41, s[96:99], 0 offen offset:2048// 000000006140: E05C1800 80987029
	buffer_load_dwordx4 a[116:119], v41, s[96:99], 0 offen offset:3072// 000000006148: E05C1C00 80987429
	v_mfma_f32_16x16x128_f8f6f4 v[148:151], a[48:55], a[152:159], 0// 000000006150: D3AD0094 1A033130
	v_mfma_f32_16x16x128_f8f6f4 v[152:155], a[56:63], a[136:143], 0// 000000006158: D3AD0098 1A031138
	buffer_load_dwordx4 a[120:123], v42, s[96:99], 0 offen offset:2048// 000000006160: E05C1800 8098782A
	buffer_load_dwordx4 a[124:127], v42, s[96:99], 0 offen offset:3072// 000000006168: E05C1C00 80987C2A
	v_mfma_f32_16x16x128_f8f6f4 v[156:159], a[56:63], a[152:159], 0// 000000006170: D3AD009C 1A033138
	v_mul_f32_dpp v52, v29, v23 row_newbcast:2 row_mask:0xf bank_mask:0xf// 000000006178: 0A682EFA FF01521D
	v_mov_b32_e32 v53, v52                                     // 000000006180: 7E6A0334
	v_pk_fma_f32 v[64:65], v[128:129], v[52:53], v[64:65]      // 000000006184: D3B04040 1D026980
	v_pk_fma_f32 v[66:67], v[130:131], v[52:53], v[66:67]      // 00000000618C: D3B04042 1D0A6982
	v_pk_fma_f32 v[72:73], v[136:137], v[52:53], v[72:73]      // 000000006194: D3B04048 1D226988
	v_pk_fma_f32 v[74:75], v[138:139], v[52:53], v[74:75]      // 00000000619C: D3B0404A 1D2A698A
	v_mul_f32_dpp v52, v29, v23 row_newbcast:3 row_mask:0xf bank_mask:0xf// 0000000061A4: 0A682EFA FF01531D
	v_mov_b32_e32 v53, v52                                     // 0000000061AC: 7E6A0334
	v_pk_fma_f32 v[80:81], v[144:145], v[52:53], v[80:81]      // 0000000061B0: D3B04050 1D426990
	v_pk_fma_f32 v[82:83], v[146:147], v[52:53], v[82:83]      // 0000000061B8: D3B04052 1D4A6992
	v_pk_fma_f32 v[88:89], v[152:153], v[52:53], v[88:89]      // 0000000061C0: D3B04058 1D626998
	v_pk_fma_f32 v[90:91], v[154:155], v[52:53], v[90:91]      // 0000000061C8: D3B0405A 1D6A699A
	v_mul_f32_dpp v52, v29, v24 row_newbcast:2 row_mask:0xf bank_mask:0xf// 0000000061D0: 0A6830FA FF01521D
	v_mov_b32_e32 v53, v52                                     // 0000000061D8: 7E6A0334
	v_pk_fma_f32 v[68:69], v[132:133], v[52:53], v[68:69]      // 0000000061DC: D3B04044 1D126984
	v_pk_fma_f32 v[70:71], v[134:135], v[52:53], v[70:71]      // 0000000061E4: D3B04046 1D1A6986
	v_pk_fma_f32 v[76:77], v[140:141], v[52:53], v[76:77]      // 0000000061EC: D3B0404C 1D32698C
	v_pk_fma_f32 v[78:79], v[142:143], v[52:53], v[78:79]      // 0000000061F4: D3B0404E 1D3A698E
	v_mul_f32_dpp v52, v29, v24 row_newbcast:3 row_mask:0xf bank_mask:0xf// 0000000061FC: 0A6830FA FF01531D
	v_mov_b32_e32 v53, v52                                     // 000000006204: 7E6A0334
	v_pk_fma_f32 v[84:85], v[148:149], v[52:53], v[84:85]      // 000000006208: D3B04054 1D526994
	v_pk_fma_f32 v[86:87], v[150:151], v[52:53], v[86:87]      // 000000006210: D3B04056 1D5A6996
	v_pk_fma_f32 v[92:93], v[156:157], v[52:53], v[92:93]      // 000000006218: D3B0405C 1D72699C
	v_pk_fma_f32 v[94:95], v[158:159], v[52:53], v[94:95]      // 000000006220: D3B0405E 1D7A699E
	s_add_u32 s56, 0x100, s76                                  // 000000006228: 80384CFF 00000100
	s_cmp_lt_u32 s56, s77                                      // 000000006230: BF0A4D38
	s_cselect_b32 s4, s4, 0                                    // 000000006234: 85048004
	s_add_u32 s32, s4, s32                                     // 000000006238: 80202004
	s_addc_u32 s33, 0, s33                                     // 00000000623C: 82212180
	s_waitcnt vmcnt(12)                                        // 000000006240: BF8C0F7C
	s_barrier                                                  // 000000006244: BF8A0000
	v_mfma_f32_16x16x128_f8f6f4 v[128:131], a[64:71], a[128:135], 0// 000000006248: D3AD0080 1A030140
	buffer_load_dword v29, v17, s[32:35], 0 offen              // 000000006250: E0501000 80081D11
	buffer_load_dwordx4 a[0:3], v39, s[24:27], 0 offen         // 000000006258: E05C1000 80860027
	buffer_load_dwordx4 a[4:7], v39, s[24:27], 0 offen offset:1024// 000000006260: E05C1400 80860427
	v_mfma_f32_16x16x128_f8f6f4 v[132:135], a[64:71], a[144:151], 0// 000000006268: D3AD0084 1A032140
	v_mfma_f32_16x16x128_f8f6f4 v[136:139], a[72:79], a[128:135], 0// 000000006270: D3AD0088 1A030148
	buffer_load_dwordx4 a[8:11], v40, s[24:27], 0 offen        // 000000006278: E05C1000 80860828
	buffer_load_dwordx4 a[12:15], v40, s[24:27], 0 offen offset:1024// 000000006280: E05C1400 80860C28
	v_mfma_f32_16x16x128_f8f6f4 v[140:143], a[72:79], a[144:151], 0// 000000006288: D3AD008C 1A032148
	s_waitcnt vmcnt(13)                                        // 000000006290: BF8C0F7D
	v_mfma_f32_16x16x128_f8f6f4 v[144:147], a[80:87], a[128:135], 0// 000000006294: D3AD0090 1A030150
	buffer_load_dwordx4 a[16:19], v41, s[24:27], 0 offen       // 00000000629C: E05C1000 80861029
	buffer_load_dwordx4 a[20:23], v41, s[24:27], 0 offen offset:1024// 0000000062A4: E05C1400 80861429
	v_mfma_f32_16x16x128_f8f6f4 v[148:151], a[80:87], a[144:151], 0// 0000000062AC: D3AD0094 1A032150
	v_mfma_f32_16x16x128_f8f6f4 v[152:155], a[88:95], a[128:135], 0// 0000000062B4: D3AD0098 1A030158
	buffer_load_dwordx4 a[24:27], v42, s[24:27], 0 offen       // 0000000062BC: E05C1000 8086182A
	buffer_load_dwordx4 a[28:31], v42, s[24:27], 0 offen offset:1024// 0000000062C4: E05C1400 80861C2A
	v_mfma_f32_16x16x128_f8f6f4 v[156:159], a[88:95], a[144:151], 0// 0000000062CC: D3AD009C 1A032158
	v_mul_f32_dpp v52, v30, v21 row_newbcast:0 row_mask:0xf bank_mask:0xf// 0000000062D4: 0A682AFA FF01501E
	v_mov_b32_e32 v53, v52                                     // 0000000062DC: 7E6A0334
	v_pk_fma_f32 v[96:97], v[128:129], v[52:53], v[96:97]      // 0000000062E0: D3B04060 1D826980
	v_pk_fma_f32 v[98:99], v[130:131], v[52:53], v[98:99]      // 0000000062E8: D3B04062 1D8A6982
	v_pk_fma_f32 v[104:105], v[136:137], v[52:53], v[104:105]  // 0000000062F0: D3B04068 1DA26988
	v_pk_fma_f32 v[106:107], v[138:139], v[52:53], v[106:107]  // 0000000062F8: D3B0406A 1DAA698A
	v_mul_f32_dpp v52, v30, v21 row_newbcast:1 row_mask:0xf bank_mask:0xf// 000000006300: 0A682AFA FF01511E
	v_mov_b32_e32 v53, v52                                     // 000000006308: 7E6A0334
	v_pk_fma_f32 v[112:113], v[144:145], v[52:53], v[112:113]  // 00000000630C: D3B04070 1DC26990
	v_pk_fma_f32 v[114:115], v[146:147], v[52:53], v[114:115]  // 000000006314: D3B04072 1DCA6992
	v_pk_fma_f32 v[120:121], v[152:153], v[52:53], v[120:121]  // 00000000631C: D3B04078 1DE26998
	v_pk_fma_f32 v[122:123], v[154:155], v[52:53], v[122:123]  // 000000006324: D3B0407A 1DEA699A
	v_mul_f32_dpp v52, v30, v22 row_newbcast:0 row_mask:0xf bank_mask:0xf// 00000000632C: 0A682CFA FF01501E
	v_mov_b32_e32 v53, v52                                     // 000000006334: 7E6A0334
	v_pk_fma_f32 v[100:101], v[132:133], v[52:53], v[100:101]  // 000000006338: D3B04064 1D926984
	v_pk_fma_f32 v[102:103], v[134:135], v[52:53], v[102:103]  // 000000006340: D3B04066 1D9A6986
	v_pk_fma_f32 v[108:109], v[140:141], v[52:53], v[108:109]  // 000000006348: D3B0406C 1DB2698C
	v_pk_fma_f32 v[110:111], v[142:143], v[52:53], v[110:111]  // 000000006350: D3B0406E 1DBA698E
	v_mul_f32_dpp v52, v30, v22 row_newbcast:1 row_mask:0xf bank_mask:0xf// 000000006358: 0A682CFA FF01511E
	v_mov_b32_e32 v53, v52                                     // 000000006360: 7E6A0334
	v_pk_fma_f32 v[116:117], v[148:149], v[52:53], v[116:117]  // 000000006364: D3B04074 1DD26994
	v_pk_fma_f32 v[118:119], v[150:151], v[52:53], v[118:119]  // 00000000636C: D3B04076 1DDA6996
	v_pk_fma_f32 v[124:125], v[156:157], v[52:53], v[124:125]  // 000000006374: D3B0407C 1DF2699C
	v_pk_fma_f32 v[126:127], v[158:159], v[52:53], v[126:127]  // 00000000637C: D3B0407E 1DFA699E
	s_waitcnt vmcnt(13)                                        // 000000006384: BF8C0F7D
	v_mfma_f32_16x16x128_f8f6f4 v[128:131], a[96:103], a[136:143], 0// 000000006388: D3AD0080 1A031160
	buffer_load_dwordx4 a[32:35], v39, s[24:27], 0 offen offset:2048// 000000006390: E05C1800 80862027
	buffer_load_dwordx4 a[36:39], v39, s[24:27], 0 offen offset:3072// 000000006398: E05C1C00 80862427
	v_mfma_f32_16x16x128_f8f6f4 v[132:135], a[96:103], a[152:159], 0// 0000000063A0: D3AD0084 1A033160
	ds_read_b128 a[160:163], v2 offset:9472                    // 0000000063A8: DBFE2500 A0000002
	ds_read_b128 a[164:167], v2 offset:9536                    // 0000000063B0: DBFE2540 A4000002
	ds_read_b32 v25, v3 offset:17920                           // 0000000063B8: D86C4600 19000003
	v_mfma_f32_16x16x128_f8f6f4 v[136:139], a[104:111], a[136:143], 0// 0000000063C0: D3AD0088 1A031168
	buffer_load_dwordx4 a[40:43], v40, s[24:27], 0 offen offset:2048// 0000000063C8: E05C1800 80862828
	buffer_load_dwordx4 a[44:47], v40, s[24:27], 0 offen offset:3072// 0000000063D0: E05C1C00 80862C28
	v_mfma_f32_16x16x128_f8f6f4 v[140:143], a[104:111], a[152:159], 0// 0000000063D8: D3AD008C 1A033168
	ds_read_b128 a[168:171], v2 offset:13696                   // 0000000063E0: DBFE3580 A8000002
	ds_read_b128 a[172:175], v2 offset:13760                   // 0000000063E8: DBFE35C0 AC000002
	ds_read_b32 v26, v3 offset:18176                           // 0000000063F0: D86C4700 1A000003
	s_waitcnt vmcnt(13)                                        // 0000000063F8: BF8C0F7D
	v_mfma_f32_16x16x128_f8f6f4 v[144:147], a[112:119], a[136:143], 0// 0000000063FC: D3AD0090 1A031170
	buffer_load_dwordx4 a[48:51], v41, s[24:27], 0 offen offset:2048// 000000006404: E05C1800 80863029
	buffer_load_dwordx4 a[52:55], v41, s[24:27], 0 offen offset:3072// 00000000640C: E05C1C00 80863429
	v_mfma_f32_16x16x128_f8f6f4 v[148:151], a[112:119], a[152:159], 0// 000000006414: D3AD0094 1A033170
	ds_read_b128 a[176:179], v2 offset:9984                    // 00000000641C: DBFE2700 B0000002
	ds_read_b128 a[180:183], v2 offset:10048                   // 000000006424: DBFE2740 B4000002
	ds_read_b32 v27, v3 offset:18432                           // 00000000642C: D86C4800 1B000003
	v_mfma_f32_16x16x128_f8f6f4 v[152:155], a[120:127], a[136:143], 0// 000000006434: D3AD0098 1A031178
	buffer_load_dwordx4 a[56:59], v42, s[24:27], 0 offen offset:2048// 00000000643C: E05C1800 8086382A
	buffer_load_dwordx4 a[60:63], v42, s[24:27], 0 offen offset:3072// 000000006444: E05C1C00 80863C2A
	v_mfma_f32_16x16x128_f8f6f4 v[156:159], a[120:127], a[152:159], 0// 00000000644C: D3AD009C 1A033178
	ds_read_b128 a[184:187], v2 offset:14208                   // 000000006454: DBFE3780 B8000002
	ds_read_b128 a[188:191], v2 offset:14272                   // 00000000645C: DBFE37C0 BC000002
	ds_read_b32 v28, v3 offset:18688                           // 000000006464: D86C4900 1C000003
	v_mul_f32_dpp v52, v30, v23 row_newbcast:2 row_mask:0xf bank_mask:0xf// 00000000646C: 0A682EFA FF01521E
	v_mov_b32_e32 v53, v52                                     // 000000006474: 7E6A0334
	v_pk_fma_f32 v[96:97], v[128:129], v[52:53], v[96:97]      // 000000006478: D3B04060 1D826980
	v_pk_fma_f32 v[98:99], v[130:131], v[52:53], v[98:99]      // 000000006480: D3B04062 1D8A6982
	v_pk_fma_f32 v[104:105], v[136:137], v[52:53], v[104:105]  // 000000006488: D3B04068 1DA26988
	v_pk_fma_f32 v[106:107], v[138:139], v[52:53], v[106:107]  // 000000006490: D3B0406A 1DAA698A
	v_mul_f32_dpp v52, v30, v23 row_newbcast:3 row_mask:0xf bank_mask:0xf// 000000006498: 0A682EFA FF01531E
	v_mov_b32_e32 v53, v52                                     // 0000000064A0: 7E6A0334
	v_pk_fma_f32 v[112:113], v[144:145], v[52:53], v[112:113]  // 0000000064A4: D3B04070 1DC26990
	v_pk_fma_f32 v[114:115], v[146:147], v[52:53], v[114:115]  // 0000000064AC: D3B04072 1DCA6992
	v_pk_fma_f32 v[120:121], v[152:153], v[52:53], v[120:121]  // 0000000064B4: D3B04078 1DE26998
	v_pk_fma_f32 v[122:123], v[154:155], v[52:53], v[122:123]  // 0000000064BC: D3B0407A 1DEA699A
	v_mul_f32_dpp v52, v30, v24 row_newbcast:2 row_mask:0xf bank_mask:0xf// 0000000064C4: 0A6830FA FF01521E
	v_mov_b32_e32 v53, v52                                     // 0000000064CC: 7E6A0334
	v_pk_fma_f32 v[100:101], v[132:133], v[52:53], v[100:101]  // 0000000064D0: D3B04064 1D926984
	v_pk_fma_f32 v[102:103], v[134:135], v[52:53], v[102:103]  // 0000000064D8: D3B04066 1D9A6986
	v_pk_fma_f32 v[108:109], v[140:141], v[52:53], v[108:109]  // 0000000064E0: D3B0406C 1DB2698C
	v_pk_fma_f32 v[110:111], v[142:143], v[52:53], v[110:111]  // 0000000064E8: D3B0406E 1DBA698E
	v_mul_f32_dpp v52, v30, v24 row_newbcast:3 row_mask:0xf bank_mask:0xf// 0000000064F0: 0A6830FA FF01531E
	v_mov_b32_e32 v53, v52                                     // 0000000064F8: 7E6A0334
	v_pk_fma_f32 v[116:117], v[148:149], v[52:53], v[116:117]  // 0000000064FC: D3B04074 1DD26994
	v_pk_fma_f32 v[118:119], v[150:151], v[52:53], v[118:119]  // 000000006504: D3B04076 1DDA6996
	v_pk_fma_f32 v[124:125], v[156:157], v[52:53], v[124:125]  // 00000000650C: D3B0407C 1DF2699C
	v_pk_fma_f32 v[126:127], v[158:159], v[52:53], v[126:127]  // 000000006514: D3B0407E 1DFA699E
	s_add_u32 s56, 0x200, s76                                  // 00000000651C: 80384CFF 00000200
	s_cmp_lt_u32 s56, s77                                      // 000000006524: BF0A4D38
	s_cselect_b32 s53, s53, 0                                  // 000000006528: 85358035
	s_cselect_b32 s3, s3, 0                                    // 00000000652C: 85038003
	s_add_u32 s56, 0x200, s76                                  // 000000006530: 80384CFF 00000200
	s_cmp_lt_u32 s56, s77                                      // 000000006538: BF0A4D38
	s_cselect_b32 s54, s54, 0                                  // 00000000653C: 85368036
	s_add_u32 s20, s53, s20                                    // 000000006540: 80141435
	s_addc_u32 s21, 0, s21                                     // 000000006544: 82151580
	s_add_u32 s28, s3, s28                                     // 000000006548: 801C1C03
	s_addc_u32 s29, 0, s29                                     // 00000000654C: 821D1D80
	s_add_u32 s24, s54, s24                                    // 000000006550: 80181836
	s_addc_u32 s25, 0, s25                                     // 000000006554: 82191980
	s_add_u32 s96, s94, s96                                    // 000000006558: 8060605E
	s_addc_u32 s97, 0, s97                                     // 00000000655C: 82616180
	s_addk_i32 s76, 0x100                                      // 000000006560: B74C0100
	s_cmp_lt_i32 s76, s77                                      // 000000006564: BF044D4C
	s_cbranch_scc0 label_0F56                                  // 000000006568: BF84017B
	s_waitcnt vmcnt(12) lgkmcnt(0)                             // 00000000656C: BF8C007C
	s_barrier                                                  // 000000006570: BF8A0000
	v_mfma_f32_16x16x128_f8f6f4 v[128:131], a[0:7], a[160:167], 0// 000000006574: D3AD0080 1A034100
	buffer_load_dwordx4 v35, s[20:23], 0 offen lds             // 00000000657C: E05D1000 80050023
	s_add_u32 m0, 0x1080, s48                                  // 000000006584: 807C30FF 00001080
	buffer_load_dwordx4 v36, s[20:23], 0 offen lds             // 00000000658C: E05D1000 80050024
	s_add_u32 m0, m0, s72                                      // 000000006594: 807C487C
	buffer_load_dword v9, s[28:31], 0 offen lds                // 000000006598: E0511000 80070009
	s_add_u32 m0, 0, s49                                       // 0000000065A0: 807C3180
	buffer_load_dword v30, v19, s[32:35], 0 offen              // 0000000065A4: E0501000 80081E13
	buffer_load_dwordx4 a[64:67], v39, s[96:99], 0 offen       // 0000000065AC: E05C1000 80984027
	buffer_load_dwordx4 a[68:71], v39, s[96:99], 0 offen offset:1024// 0000000065B4: E05C1400 80984427
	v_mfma_f32_16x16x128_f8f6f4 v[132:135], a[0:7], a[176:183], 0// 0000000065BC: D3AD0084 1A036100
	v_mfma_f32_16x16x128_f8f6f4 v[136:139], a[8:15], a[160:167], 0// 0000000065C4: D3AD0088 1A034108
	buffer_load_dwordx4 a[72:75], v40, s[96:99], 0 offen       // 0000000065CC: E05C1000 80984828
	buffer_load_dwordx4 a[76:79], v40, s[96:99], 0 offen offset:1024// 0000000065D4: E05C1400 80984C28
	v_mfma_f32_16x16x128_f8f6f4 v[140:143], a[8:15], a[176:183], 0// 0000000065DC: D3AD008C 1A036108
	s_waitcnt vmcnt(16)                                        // 0000000065E4: BF8C4F70
	v_mfma_f32_16x16x128_f8f6f4 v[144:147], a[16:23], a[160:167], 0// 0000000065E8: D3AD0090 1A034110
	buffer_load_dwordx4 a[80:83], v41, s[96:99], 0 offen       // 0000000065F0: E05C1000 80985029
	buffer_load_dwordx4 a[84:87], v41, s[96:99], 0 offen offset:1024// 0000000065F8: E05C1400 80985429
	v_mfma_f32_16x16x128_f8f6f4 v[148:151], a[16:23], a[176:183], 0// 000000006600: D3AD0094 1A036110
	v_mfma_f32_16x16x128_f8f6f4 v[152:155], a[24:31], a[160:167], 0// 000000006608: D3AD0098 1A034118
	buffer_load_dwordx4 a[88:91], v42, s[96:99], 0 offen       // 000000006610: E05C1000 8098582A
	buffer_load_dwordx4 a[92:95], v42, s[96:99], 0 offen offset:1024// 000000006618: E05C1400 80985C2A
	v_mfma_f32_16x16x128_f8f6f4 v[156:159], a[24:31], a[176:183], 0// 000000006620: D3AD009C 1A036118
	v_mul_f32_dpp v52, v29, v25 row_newbcast:0 row_mask:0xf bank_mask:0xf// 000000006628: 0A6832FA FF01501D
	v_mov_b32_e32 v53, v52                                     // 000000006630: 7E6A0334
	v_pk_fma_f32 v[64:65], v[128:129], v[52:53], v[64:65]      // 000000006634: D3B04040 1D026980
	v_pk_fma_f32 v[66:67], v[130:131], v[52:53], v[66:67]      // 00000000663C: D3B04042 1D0A6982
	v_pk_fma_f32 v[72:73], v[136:137], v[52:53], v[72:73]      // 000000006644: D3B04048 1D226988
	v_pk_fma_f32 v[74:75], v[138:139], v[52:53], v[74:75]      // 00000000664C: D3B0404A 1D2A698A
	v_mul_f32_dpp v52, v29, v25 row_newbcast:1 row_mask:0xf bank_mask:0xf// 000000006654: 0A6832FA FF01511D
	v_mov_b32_e32 v53, v52                                     // 00000000665C: 7E6A0334
	v_pk_fma_f32 v[80:81], v[144:145], v[52:53], v[80:81]      // 000000006660: D3B04050 1D426990
	v_pk_fma_f32 v[82:83], v[146:147], v[52:53], v[82:83]      // 000000006668: D3B04052 1D4A6992
	v_pk_fma_f32 v[88:89], v[152:153], v[52:53], v[88:89]      // 000000006670: D3B04058 1D626998
	v_pk_fma_f32 v[90:91], v[154:155], v[52:53], v[90:91]      // 000000006678: D3B0405A 1D6A699A
	v_mul_f32_dpp v52, v29, v26 row_newbcast:0 row_mask:0xf bank_mask:0xf// 000000006680: 0A6834FA FF01501D
	v_mov_b32_e32 v53, v52                                     // 000000006688: 7E6A0334
	v_pk_fma_f32 v[68:69], v[132:133], v[52:53], v[68:69]      // 00000000668C: D3B04044 1D126984
	v_pk_fma_f32 v[70:71], v[134:135], v[52:53], v[70:71]      // 000000006694: D3B04046 1D1A6986
	v_pk_fma_f32 v[76:77], v[140:141], v[52:53], v[76:77]      // 00000000669C: D3B0404C 1D32698C
	v_pk_fma_f32 v[78:79], v[142:143], v[52:53], v[78:79]      // 0000000066A4: D3B0404E 1D3A698E
	v_mul_f32_dpp v52, v29, v26 row_newbcast:1 row_mask:0xf bank_mask:0xf// 0000000066AC: 0A6834FA FF01511D
	v_mov_b32_e32 v53, v52                                     // 0000000066B4: 7E6A0334
	v_pk_fma_f32 v[84:85], v[148:149], v[52:53], v[84:85]      // 0000000066B8: D3B04054 1D526994
	v_pk_fma_f32 v[86:87], v[150:151], v[52:53], v[86:87]      // 0000000066C0: D3B04056 1D5A6996
	v_pk_fma_f32 v[92:93], v[156:157], v[52:53], v[92:93]      // 0000000066C8: D3B0405C 1D72699C
	v_pk_fma_f32 v[94:95], v[158:159], v[52:53], v[94:95]      // 0000000066D0: D3B0405E 1D7A699E
	s_waitcnt vmcnt(16)                                        // 0000000066D8: BF8C4F70
	v_mfma_f32_16x16x128_f8f6f4 v[128:131], a[32:39], a[168:175], 0// 0000000066DC: D3AD0080 1A035120
	buffer_load_dwordx4 a[96:99], v39, s[96:99], 0 offen offset:2048// 0000000066E4: E05C1800 80986027
	buffer_load_dwordx4 a[100:103], v39, s[96:99], 0 offen offset:3072// 0000000066EC: E05C1C00 80986427
	v_mfma_f32_16x16x128_f8f6f4 v[132:135], a[32:39], a[184:191], 0// 0000000066F4: D3AD0084 1A037120
	v_mfma_f32_16x16x128_f8f6f4 v[136:139], a[40:47], a[168:175], 0// 0000000066FC: D3AD0088 1A035128
	buffer_load_dwordx4 a[104:107], v40, s[96:99], 0 offen offset:2048// 000000006704: E05C1800 80986828
	buffer_load_dwordx4 a[108:111], v40, s[96:99], 0 offen offset:3072// 00000000670C: E05C1C00 80986C28
	v_mfma_f32_16x16x128_f8f6f4 v[140:143], a[40:47], a[184:191], 0// 000000006714: D3AD008C 1A037128
	s_waitcnt vmcnt(16)                                        // 00000000671C: BF8C4F70
	v_mfma_f32_16x16x128_f8f6f4 v[144:147], a[48:55], a[168:175], 0// 000000006720: D3AD0090 1A035130
	buffer_load_dwordx4 a[112:115], v41, s[96:99], 0 offen offset:2048// 000000006728: E05C1800 80987029
	buffer_load_dwordx4 a[116:119], v41, s[96:99], 0 offen offset:3072// 000000006730: E05C1C00 80987429
	v_mfma_f32_16x16x128_f8f6f4 v[148:151], a[48:55], a[184:191], 0// 000000006738: D3AD0094 1A037130
	v_mfma_f32_16x16x128_f8f6f4 v[152:155], a[56:63], a[168:175], 0// 000000006740: D3AD0098 1A035138
	buffer_load_dwordx4 a[120:123], v42, s[96:99], 0 offen offset:2048// 000000006748: E05C1800 8098782A
	buffer_load_dwordx4 a[124:127], v42, s[96:99], 0 offen offset:3072// 000000006750: E05C1C00 80987C2A
	v_mfma_f32_16x16x128_f8f6f4 v[156:159], a[56:63], a[184:191], 0// 000000006758: D3AD009C 1A037138
	v_mul_f32_dpp v52, v29, v27 row_newbcast:2 row_mask:0xf bank_mask:0xf// 000000006760: 0A6836FA FF01521D
	v_mov_b32_e32 v53, v52                                     // 000000006768: 7E6A0334
	v_pk_fma_f32 v[64:65], v[128:129], v[52:53], v[64:65]      // 00000000676C: D3B04040 1D026980
	v_pk_fma_f32 v[66:67], v[130:131], v[52:53], v[66:67]      // 000000006774: D3B04042 1D0A6982
	v_pk_fma_f32 v[72:73], v[136:137], v[52:53], v[72:73]      // 00000000677C: D3B04048 1D226988
	v_pk_fma_f32 v[74:75], v[138:139], v[52:53], v[74:75]      // 000000006784: D3B0404A 1D2A698A
	v_mul_f32_dpp v52, v29, v27 row_newbcast:3 row_mask:0xf bank_mask:0xf// 00000000678C: 0A6836FA FF01531D
	v_mov_b32_e32 v53, v52                                     // 000000006794: 7E6A0334
	v_pk_fma_f32 v[80:81], v[144:145], v[52:53], v[80:81]      // 000000006798: D3B04050 1D426990
	v_pk_fma_f32 v[82:83], v[146:147], v[52:53], v[82:83]      // 0000000067A0: D3B04052 1D4A6992
	v_pk_fma_f32 v[88:89], v[152:153], v[52:53], v[88:89]      // 0000000067A8: D3B04058 1D626998
	v_pk_fma_f32 v[90:91], v[154:155], v[52:53], v[90:91]      // 0000000067B0: D3B0405A 1D6A699A
	v_mul_f32_dpp v52, v29, v28 row_newbcast:2 row_mask:0xf bank_mask:0xf// 0000000067B8: 0A6838FA FF01521D
	v_mov_b32_e32 v53, v52                                     // 0000000067C0: 7E6A0334
	v_pk_fma_f32 v[68:69], v[132:133], v[52:53], v[68:69]      // 0000000067C4: D3B04044 1D126984
	v_pk_fma_f32 v[70:71], v[134:135], v[52:53], v[70:71]      // 0000000067CC: D3B04046 1D1A6986
	v_pk_fma_f32 v[76:77], v[140:141], v[52:53], v[76:77]      // 0000000067D4: D3B0404C 1D32698C
	v_pk_fma_f32 v[78:79], v[142:143], v[52:53], v[78:79]      // 0000000067DC: D3B0404E 1D3A698E
	v_mul_f32_dpp v52, v29, v28 row_newbcast:3 row_mask:0xf bank_mask:0xf// 0000000067E4: 0A6838FA FF01531D
	v_mov_b32_e32 v53, v52                                     // 0000000067EC: 7E6A0334
	v_pk_fma_f32 v[84:85], v[148:149], v[52:53], v[84:85]      // 0000000067F0: D3B04054 1D526994
	v_pk_fma_f32 v[86:87], v[150:151], v[52:53], v[86:87]      // 0000000067F8: D3B04056 1D5A6996
	v_pk_fma_f32 v[92:93], v[156:157], v[52:53], v[92:93]      // 000000006800: D3B0405C 1D72699C
	v_pk_fma_f32 v[94:95], v[158:159], v[52:53], v[94:95]      // 000000006808: D3B0405E 1D7A699E
	s_add_u32 s56, 0x100, s76                                  // 000000006810: 80384CFF 00000100
	s_cmp_lt_u32 s56, s77                                      // 000000006818: BF0A4D38
	s_cselect_b32 s4, s4, 0                                    // 00000000681C: 85048004
	s_add_u32 s32, s4, s32                                     // 000000006820: 80202004
	s_addc_u32 s33, 0, s33                                     // 000000006824: 82212180
	s_waitcnt vmcnt(12)                                        // 000000006828: BF8C0F7C
	s_barrier                                                  // 00000000682C: BF8A0000
	v_mfma_f32_16x16x128_f8f6f4 v[128:131], a[64:71], a[160:167], 0// 000000006830: D3AD0080 1A034140
	buffer_load_dword v29, v17, s[32:35], 0 offen              // 000000006838: E0501000 80081D11
	buffer_load_dwordx4 a[0:3], v39, s[24:27], 0 offen         // 000000006840: E05C1000 80860027
	buffer_load_dwordx4 a[4:7], v39, s[24:27], 0 offen offset:1024// 000000006848: E05C1400 80860427
	v_mfma_f32_16x16x128_f8f6f4 v[132:135], a[64:71], a[176:183], 0// 000000006850: D3AD0084 1A036140
	v_mfma_f32_16x16x128_f8f6f4 v[136:139], a[72:79], a[160:167], 0// 000000006858: D3AD0088 1A034148
	buffer_load_dwordx4 a[8:11], v40, s[24:27], 0 offen        // 000000006860: E05C1000 80860828
	buffer_load_dwordx4 a[12:15], v40, s[24:27], 0 offen offset:1024// 000000006868: E05C1400 80860C28
	v_mfma_f32_16x16x128_f8f6f4 v[140:143], a[72:79], a[176:183], 0// 000000006870: D3AD008C 1A036148
	s_waitcnt vmcnt(13)                                        // 000000006878: BF8C0F7D
	v_mfma_f32_16x16x128_f8f6f4 v[144:147], a[80:87], a[160:167], 0// 00000000687C: D3AD0090 1A034150
	buffer_load_dwordx4 a[16:19], v41, s[24:27], 0 offen       // 000000006884: E05C1000 80861029
	buffer_load_dwordx4 a[20:23], v41, s[24:27], 0 offen offset:1024// 00000000688C: E05C1400 80861429
	v_mfma_f32_16x16x128_f8f6f4 v[148:151], a[80:87], a[176:183], 0// 000000006894: D3AD0094 1A036150
	v_mfma_f32_16x16x128_f8f6f4 v[152:155], a[88:95], a[160:167], 0// 00000000689C: D3AD0098 1A034158
	buffer_load_dwordx4 a[24:27], v42, s[24:27], 0 offen       // 0000000068A4: E05C1000 8086182A
	buffer_load_dwordx4 a[28:31], v42, s[24:27], 0 offen offset:1024// 0000000068AC: E05C1400 80861C2A
	v_mfma_f32_16x16x128_f8f6f4 v[156:159], a[88:95], a[176:183], 0// 0000000068B4: D3AD009C 1A036158
	v_mul_f32_dpp v52, v30, v25 row_newbcast:0 row_mask:0xf bank_mask:0xf// 0000000068BC: 0A6832FA FF01501E
	v_mov_b32_e32 v53, v52                                     // 0000000068C4: 7E6A0334
	v_pk_fma_f32 v[96:97], v[128:129], v[52:53], v[96:97]      // 0000000068C8: D3B04060 1D826980
	v_pk_fma_f32 v[98:99], v[130:131], v[52:53], v[98:99]      // 0000000068D0: D3B04062 1D8A6982
	v_pk_fma_f32 v[104:105], v[136:137], v[52:53], v[104:105]  // 0000000068D8: D3B04068 1DA26988
	v_pk_fma_f32 v[106:107], v[138:139], v[52:53], v[106:107]  // 0000000068E0: D3B0406A 1DAA698A
	v_mul_f32_dpp v52, v30, v25 row_newbcast:1 row_mask:0xf bank_mask:0xf// 0000000068E8: 0A6832FA FF01511E
	v_mov_b32_e32 v53, v52                                     // 0000000068F0: 7E6A0334
	v_pk_fma_f32 v[112:113], v[144:145], v[52:53], v[112:113]  // 0000000068F4: D3B04070 1DC26990
	v_pk_fma_f32 v[114:115], v[146:147], v[52:53], v[114:115]  // 0000000068FC: D3B04072 1DCA6992
	v_pk_fma_f32 v[120:121], v[152:153], v[52:53], v[120:121]  // 000000006904: D3B04078 1DE26998
	v_pk_fma_f32 v[122:123], v[154:155], v[52:53], v[122:123]  // 00000000690C: D3B0407A 1DEA699A
	v_mul_f32_dpp v52, v30, v26 row_newbcast:0 row_mask:0xf bank_mask:0xf// 000000006914: 0A6834FA FF01501E
	v_mov_b32_e32 v53, v52                                     // 00000000691C: 7E6A0334
	v_pk_fma_f32 v[100:101], v[132:133], v[52:53], v[100:101]  // 000000006920: D3B04064 1D926984
	v_pk_fma_f32 v[102:103], v[134:135], v[52:53], v[102:103]  // 000000006928: D3B04066 1D9A6986
	v_pk_fma_f32 v[108:109], v[140:141], v[52:53], v[108:109]  // 000000006930: D3B0406C 1DB2698C
	v_pk_fma_f32 v[110:111], v[142:143], v[52:53], v[110:111]  // 000000006938: D3B0406E 1DBA698E
	v_mul_f32_dpp v52, v30, v26 row_newbcast:1 row_mask:0xf bank_mask:0xf// 000000006940: 0A6834FA FF01511E
	v_mov_b32_e32 v53, v52                                     // 000000006948: 7E6A0334
	v_pk_fma_f32 v[116:117], v[148:149], v[52:53], v[116:117]  // 00000000694C: D3B04074 1DD26994
	v_pk_fma_f32 v[118:119], v[150:151], v[52:53], v[118:119]  // 000000006954: D3B04076 1DDA6996
	v_pk_fma_f32 v[124:125], v[156:157], v[52:53], v[124:125]  // 00000000695C: D3B0407C 1DF2699C
	v_pk_fma_f32 v[126:127], v[158:159], v[52:53], v[126:127]  // 000000006964: D3B0407E 1DFA699E
	s_waitcnt vmcnt(13)                                        // 00000000696C: BF8C0F7D
	v_mfma_f32_16x16x128_f8f6f4 v[128:131], a[96:103], a[168:175], 0// 000000006970: D3AD0080 1A035160
	buffer_load_dwordx4 a[32:35], v39, s[24:27], 0 offen offset:2048// 000000006978: E05C1800 80862027
	buffer_load_dwordx4 a[36:39], v39, s[24:27], 0 offen offset:3072// 000000006980: E05C1C00 80862427
	v_mfma_f32_16x16x128_f8f6f4 v[132:135], a[96:103], a[184:191], 0// 000000006988: D3AD0084 1A037160
	ds_read_b128 a[128:131], v2                                // 000000006990: DBFE0000 80000002
	ds_read_b128 a[132:135], v2 offset:64                      // 000000006998: DBFE0040 84000002
	ds_read_b32 v21, v3 offset:8448                            // 0000000069A0: D86C2100 15000003
	v_mfma_f32_16x16x128_f8f6f4 v[136:139], a[104:111], a[168:175], 0// 0000000069A8: D3AD0088 1A035168
	buffer_load_dwordx4 a[40:43], v40, s[24:27], 0 offen offset:2048// 0000000069B0: E05C1800 80862828
	buffer_load_dwordx4 a[44:47], v40, s[24:27], 0 offen offset:3072// 0000000069B8: E05C1C00 80862C28
	v_mfma_f32_16x16x128_f8f6f4 v[140:143], a[104:111], a[184:191], 0// 0000000069C0: D3AD008C 1A037168
	ds_read_b128 a[136:139], v2 offset:4224                    // 0000000069C8: DBFE1080 88000002
	ds_read_b128 a[140:143], v2 offset:4288                    // 0000000069D0: DBFE10C0 8C000002
	ds_read_b32 v22, v3 offset:8704                            // 0000000069D8: D86C2200 16000003
	s_waitcnt vmcnt(13)                                        // 0000000069E0: BF8C0F7D
	v_mfma_f32_16x16x128_f8f6f4 v[144:147], a[112:119], a[168:175], 0// 0000000069E4: D3AD0090 1A035170
	buffer_load_dwordx4 a[48:51], v41, s[24:27], 0 offen offset:2048// 0000000069EC: E05C1800 80863029
	buffer_load_dwordx4 a[52:55], v41, s[24:27], 0 offen offset:3072// 0000000069F4: E05C1C00 80863429
	v_mfma_f32_16x16x128_f8f6f4 v[148:151], a[112:119], a[184:191], 0// 0000000069FC: D3AD0094 1A037170
	ds_read_b128 a[144:147], v2 offset:512                     // 000000006A04: DBFE0200 90000002
	ds_read_b128 a[148:151], v2 offset:576                     // 000000006A0C: DBFE0240 94000002
	ds_read_b32 v23, v3 offset:8960                            // 000000006A14: D86C2300 17000003
	v_mfma_f32_16x16x128_f8f6f4 v[152:155], a[120:127], a[168:175], 0// 000000006A1C: D3AD0098 1A035178
	buffer_load_dwordx4 a[56:59], v42, s[24:27], 0 offen offset:2048// 000000006A24: E05C1800 8086382A
	buffer_load_dwordx4 a[60:63], v42, s[24:27], 0 offen offset:3072// 000000006A2C: E05C1C00 80863C2A
	v_mfma_f32_16x16x128_f8f6f4 v[156:159], a[120:127], a[184:191], 0// 000000006A34: D3AD009C 1A037178
	ds_read_b128 a[152:155], v2 offset:4736                    // 000000006A3C: DBFE1280 98000002
	ds_read_b128 a[156:159], v2 offset:4800                    // 000000006A44: DBFE12C0 9C000002
	ds_read_b32 v24, v3 offset:9216                            // 000000006A4C: D86C2400 18000003
	v_mul_f32_dpp v52, v30, v27 row_newbcast:2 row_mask:0xf bank_mask:0xf// 000000006A54: 0A6836FA FF01521E
	v_mov_b32_e32 v53, v52                                     // 000000006A5C: 7E6A0334
	v_pk_fma_f32 v[96:97], v[128:129], v[52:53], v[96:97]      // 000000006A60: D3B04060 1D826980
	v_pk_fma_f32 v[98:99], v[130:131], v[52:53], v[98:99]      // 000000006A68: D3B04062 1D8A6982
	v_pk_fma_f32 v[104:105], v[136:137], v[52:53], v[104:105]  // 000000006A70: D3B04068 1DA26988
	v_pk_fma_f32 v[106:107], v[138:139], v[52:53], v[106:107]  // 000000006A78: D3B0406A 1DAA698A
	v_mul_f32_dpp v52, v30, v27 row_newbcast:3 row_mask:0xf bank_mask:0xf// 000000006A80: 0A6836FA FF01531E
	v_mov_b32_e32 v53, v52                                     // 000000006A88: 7E6A0334
	v_pk_fma_f32 v[112:113], v[144:145], v[52:53], v[112:113]  // 000000006A8C: D3B04070 1DC26990
	v_pk_fma_f32 v[114:115], v[146:147], v[52:53], v[114:115]  // 000000006A94: D3B04072 1DCA6992
	v_pk_fma_f32 v[120:121], v[152:153], v[52:53], v[120:121]  // 000000006A9C: D3B04078 1DE26998
	v_pk_fma_f32 v[122:123], v[154:155], v[52:53], v[122:123]  // 000000006AA4: D3B0407A 1DEA699A
	v_mul_f32_dpp v52, v30, v28 row_newbcast:2 row_mask:0xf bank_mask:0xf// 000000006AAC: 0A6838FA FF01521E
	v_mov_b32_e32 v53, v52                                     // 000000006AB4: 7E6A0334
	v_pk_fma_f32 v[100:101], v[132:133], v[52:53], v[100:101]  // 000000006AB8: D3B04064 1D926984
	v_pk_fma_f32 v[102:103], v[134:135], v[52:53], v[102:103]  // 000000006AC0: D3B04066 1D9A6986
	v_pk_fma_f32 v[108:109], v[140:141], v[52:53], v[108:109]  // 000000006AC8: D3B0406C 1DB2698C
	v_pk_fma_f32 v[110:111], v[142:143], v[52:53], v[110:111]  // 000000006AD0: D3B0406E 1DBA698E
	v_mul_f32_dpp v52, v30, v28 row_newbcast:3 row_mask:0xf bank_mask:0xf// 000000006AD8: 0A6838FA FF01531E
	v_mov_b32_e32 v53, v52                                     // 000000006AE0: 7E6A0334
	v_pk_fma_f32 v[116:117], v[148:149], v[52:53], v[116:117]  // 000000006AE4: D3B04074 1DD26994
	v_pk_fma_f32 v[118:119], v[150:151], v[52:53], v[118:119]  // 000000006AEC: D3B04076 1DDA6996
	v_pk_fma_f32 v[124:125], v[156:157], v[52:53], v[124:125]  // 000000006AF4: D3B0407C 1DF2699C
	v_pk_fma_f32 v[126:127], v[158:159], v[52:53], v[126:127]  // 000000006AFC: D3B0407E 1DFA699E
	s_add_u32 s56, 0x200, s76                                  // 000000006B04: 80384CFF 00000200
	s_cmp_lt_u32 s56, s77                                      // 000000006B0C: BF0A4D38
	s_cselect_b32 s53, s53, 0                                  // 000000006B10: 85358035
	s_cselect_b32 s3, s3, 0                                    // 000000006B14: 85038003
	s_add_u32 s56, 0x200, s76                                  // 000000006B18: 80384CFF 00000200
	s_cmp_lt_u32 s56, s77                                      // 000000006B20: BF0A4D38
	s_cselect_b32 s54, s54, 0                                  // 000000006B24: 85368036
	s_add_u32 s20, s53, s20                                    // 000000006B28: 80141435
	s_addc_u32 s21, 0, s21                                     // 000000006B2C: 82151580
	s_add_u32 s28, s3, s28                                     // 000000006B30: 801C1C03
	s_addc_u32 s29, 0, s29                                     // 000000006B34: 821D1D80
	s_add_u32 s24, s54, s24                                    // 000000006B38: 80181836
	s_addc_u32 s25, 0, s25                                     // 000000006B3C: 82191980
	s_add_u32 s96, s94, s96                                    // 000000006B40: 8060605E
	s_addc_u32 s97, 0, s97                                     // 000000006B44: 82616180
	s_addk_i32 s76, 0x100                                      // 000000006B48: B74C0100
	s_cmp_lt_i32 s76, s77                                      // 000000006B4C: BF044D4C
	s_cbranch_scc0 label_0F56                                  // 000000006B50: BF840001
	s_branch label_0C61                                        // 000000006B54: BF82FD0B

0000000000006b58 <label_0F56>:
	s_mov_b32 s36, -1                                          // 000000006B58: BEA400C1
	s_mov_b32 s37, -1                                          // 000000006B5C: BEA500C1
	s_mov_b64 s[56:57], 0                                      // 000000006B60: BEB80180
	s_cmp_lt_u32 s78, s62                                      // 000000006B64: BF0A3E4E
	s_cselect_b64 s[20:21], s[36:37], s[56:57]                 // 000000006B68: 85943824
	s_cmp_lt_u32 s79, s62                                      // 000000006B6C: BF0A3E4F
	s_cselect_b64 s[22:23], s[36:37], s[56:57]                 // 000000006B70: 85963824
	s_cmp_lt_u32 s80, s62                                      // 000000006B74: BF0A3E50
	s_cselect_b64 s[24:25], s[36:37], s[56:57]                 // 000000006B78: 85983824
	s_cmp_lt_u32 s81, s62                                      // 000000006B7C: BF0A3E51
	s_cselect_b64 s[26:27], s[36:37], s[56:57]                 // 000000006B80: 859A3824
	s_cmp_lt_u32 s82, s62                                      // 000000006B84: BF0A3E52
	s_cselect_b64 s[28:29], s[36:37], s[56:57]                 // 000000006B88: 859C3824
	s_cmp_lt_u32 s83, s62                                      // 000000006B8C: BF0A3E53
	s_cselect_b64 s[30:31], s[36:37], s[56:57]                 // 000000006B90: 859E3824
	s_cmp_lt_u32 s84, s62                                      // 000000006B94: BF0A3E54
	s_cselect_b64 s[32:33], s[36:37], s[56:57]                 // 000000006B98: 85A03824
	s_cmp_lt_u32 s85, s62                                      // 000000006B9C: BF0A3E55
	s_cselect_b64 s[34:35], s[36:37], s[56:57]                 // 000000006BA0: 85A23824
	s_waitcnt vmcnt(12)                                        // 000000006BA4: BF8C0F7C
	buffer_load_dwordx4 a[0:3], v43, s[12:15], 0 offen         // 000000006BA8: E05C1000 8083002B
	v_mul_f32_e32 v52, v64, v64                                // 000000006BB0: 0A688140
	v_mul_f32_e32 v53, v65, v65                                // 000000006BB4: 0A6A8341
	v_mul_f32_e32 v54, v66, v66                                // 000000006BB8: 0A6C8542
	v_mul_f32_e32 v55, v67, v67                                // 000000006BBC: 0A6E8743
	s_mov_b32 s3, 0xbd92220c                                   // 000000006BC0: BE8300FF BD92220C
	v_fma_f32 v52, v52, s3, v1                                 // 000000006BC8: D1CB0034 04040734
	v_fma_f32 v53, v53, s3, v1                                 // 000000006BD0: D1CB0035 04040735
	v_fma_f32 v54, v54, s3, v1                                 // 000000006BD8: D1CB0036 04040736
	v_fma_f32 v55, v55, s3, v1                                 // 000000006BE0: D1CB0037 04040737
	v_mul_f32_e32 v52, v52, v64                                // 000000006BE8: 0A688134
	v_mul_f32_e32 v53, v53, v65                                // 000000006BEC: 0A6A8335
	v_mul_f32_e32 v54, v54, v66                                // 000000006BF0: 0A6C8536
	v_mul_f32_e32 v55, v55, v67                                // 000000006BF4: 0A6E8737
	v_mul_f32_e64 v52, v52, s6                                 // 000000006BF8: D1050034 00000D34
	v_mul_f32_e64 v53, v53, s6                                 // 000000006C00: D1050035 00000D35
	v_mul_f32_e64 v54, v54, s6                                 // 000000006C08: D1050036 00000D36
	v_mul_f32_e64 v55, v55, s6                                 // 000000006C10: D1050037 00000D37
	v_exp_f32_e32 v52, v52                                     // 000000006C18: 7E684134
	v_exp_f32_e32 v53, v53                                     // 000000006C1C: 7E6A4135
	v_exp_f32_e32 v54, v54                                     // 000000006C20: 7E6C4136
	v_exp_f32_e32 v55, v55                                     // 000000006C24: 7E6E4137
	buffer_load_dwordx4 a[4:7], v43, s[12:15], 0 offen offset:1024// 000000006C28: E05C1400 8083042B
	v_add_f32_e64 v52, v52, 1.0                                // 000000006C30: D1010034 0001E534
	v_add_f32_e64 v53, v53, 1.0                                // 000000006C38: D1010035 0001E535
	v_add_f32_e64 v54, v54, 1.0                                // 000000006C40: D1010036 0001E536
	v_add_f32_e64 v55, v55, 1.0                                // 000000006C48: D1010037 0001E537
	v_rcp_f32_e32 v52, v52                                     // 000000006C50: 7E684534
	v_rcp_f32_e32 v53, v53                                     // 000000006C54: 7E6A4535
	v_rcp_f32_e32 v54, v54                                     // 000000006C58: 7E6C4536
	v_rcp_f32_e32 v55, v55                                     // 000000006C5C: 7E6E4537
	v_mul_f32_e32 v64, v64, v52                                // 000000006C60: 0A806940
	v_mul_f32_e32 v65, v65, v53                                // 000000006C64: 0A826B41
	v_mul_f32_e32 v66, v66, v54                                // 000000006C68: 0A846D42
	v_mul_f32_e32 v67, v67, v55                                // 000000006C6C: 0A866F43
	v_mul_f32_e32 v64, v64, v96                                // 000000006C70: 0A80C140
	v_mul_f32_e32 v65, v65, v97                                // 000000006C74: 0A82C341
	v_mul_f32_e32 v66, v66, v98                                // 000000006C78: 0A84C542
	v_mul_f32_e32 v67, v67, v99                                // 000000006C7C: 0A86C743
	buffer_load_dwordx4 a[8:11], v44, s[12:15], 0 offen        // 000000006C80: E05C1000 8083082C
	v_mul_f32_e32 v52, v68, v68                                // 000000006C88: 0A688944
	v_mul_f32_e32 v53, v69, v69                                // 000000006C8C: 0A6A8B45
	v_mul_f32_e32 v54, v70, v70                                // 000000006C90: 0A6C8D46
	v_mul_f32_e32 v55, v71, v71                                // 000000006C94: 0A6E8F47
	s_mov_b32 s3, 0xbd92220c                                   // 000000006C98: BE8300FF BD92220C
	v_fma_f32 v52, v52, s3, v1                                 // 000000006CA0: D1CB0034 04040734
	v_fma_f32 v53, v53, s3, v1                                 // 000000006CA8: D1CB0035 04040735
	v_fma_f32 v54, v54, s3, v1                                 // 000000006CB0: D1CB0036 04040736
	v_fma_f32 v55, v55, s3, v1                                 // 000000006CB8: D1CB0037 04040737
	v_mul_f32_e32 v52, v52, v68                                // 000000006CC0: 0A688934
	v_mul_f32_e32 v53, v53, v69                                // 000000006CC4: 0A6A8B35
	v_mul_f32_e32 v54, v54, v70                                // 000000006CC8: 0A6C8D36
	v_mul_f32_e32 v55, v55, v71                                // 000000006CCC: 0A6E8F37
	v_mul_f32_e64 v52, v52, s6                                 // 000000006CD0: D1050034 00000D34
	v_mul_f32_e64 v53, v53, s6                                 // 000000006CD8: D1050035 00000D35
	v_mul_f32_e64 v54, v54, s6                                 // 000000006CE0: D1050036 00000D36
	v_mul_f32_e64 v55, v55, s6                                 // 000000006CE8: D1050037 00000D37
	v_exp_f32_e32 v52, v52                                     // 000000006CF0: 7E684134
	v_exp_f32_e32 v53, v53                                     // 000000006CF4: 7E6A4135
	v_exp_f32_e32 v54, v54                                     // 000000006CF8: 7E6C4136
	v_exp_f32_e32 v55, v55                                     // 000000006CFC: 7E6E4137
	buffer_load_dwordx4 a[12:15], v44, s[12:15], 0 offen offset:1024// 000000006D00: E05C1400 80830C2C
	v_add_f32_e64 v52, v52, 1.0                                // 000000006D08: D1010034 0001E534
	v_add_f32_e64 v53, v53, 1.0                                // 000000006D10: D1010035 0001E535
	v_add_f32_e64 v54, v54, 1.0                                // 000000006D18: D1010036 0001E536
	v_add_f32_e64 v55, v55, 1.0                                // 000000006D20: D1010037 0001E537
	v_rcp_f32_e32 v52, v52                                     // 000000006D28: 7E684534
	v_rcp_f32_e32 v53, v53                                     // 000000006D2C: 7E6A4535
	v_rcp_f32_e32 v54, v54                                     // 000000006D30: 7E6C4536
	v_rcp_f32_e32 v55, v55                                     // 000000006D34: 7E6E4537
	v_mul_f32_e32 v68, v68, v52                                // 000000006D38: 0A886944
	v_mul_f32_e32 v69, v69, v53                                // 000000006D3C: 0A8A6B45
	v_mul_f32_e32 v70, v70, v54                                // 000000006D40: 0A8C6D46
	v_mul_f32_e32 v71, v71, v55                                // 000000006D44: 0A8E6F47
	v_mul_f32_e32 v68, v68, v100                               // 000000006D48: 0A88C944
	v_mul_f32_e32 v69, v69, v101                               // 000000006D4C: 0A8ACB45
	v_mul_f32_e32 v70, v70, v102                               // 000000006D50: 0A8CCD46
	v_mul_f32_e32 v71, v71, v103                               // 000000006D54: 0A8ECF47
	s_waitcnt vmcnt(12)                                        // 000000006D58: BF8C0F7C
	buffer_load_dwordx4 a[16:19], v45, s[12:15], 0 offen       // 000000006D5C: E05C1000 8083102D
	v_mul_f32_e32 v52, v72, v72                                // 000000006D64: 0A689148
	v_mul_f32_e32 v53, v73, v73                                // 000000006D68: 0A6A9349
	v_mul_f32_e32 v54, v74, v74                                // 000000006D6C: 0A6C954A
	v_mul_f32_e32 v55, v75, v75                                // 000000006D70: 0A6E974B
	s_mov_b32 s3, 0xbd92220c                                   // 000000006D74: BE8300FF BD92220C
	v_fma_f32 v52, v52, s3, v1                                 // 000000006D7C: D1CB0034 04040734
	v_fma_f32 v53, v53, s3, v1                                 // 000000006D84: D1CB0035 04040735
	v_fma_f32 v54, v54, s3, v1                                 // 000000006D8C: D1CB0036 04040736
	v_fma_f32 v55, v55, s3, v1                                 // 000000006D94: D1CB0037 04040737
	v_mul_f32_e32 v52, v52, v72                                // 000000006D9C: 0A689134
	v_mul_f32_e32 v53, v53, v73                                // 000000006DA0: 0A6A9335
	v_mul_f32_e32 v54, v54, v74                                // 000000006DA4: 0A6C9536
	v_mul_f32_e32 v55, v55, v75                                // 000000006DA8: 0A6E9737
	v_mul_f32_e64 v52, v52, s6                                 // 000000006DAC: D1050034 00000D34
	v_mul_f32_e64 v53, v53, s6                                 // 000000006DB4: D1050035 00000D35
	v_mul_f32_e64 v54, v54, s6                                 // 000000006DBC: D1050036 00000D36
	v_mul_f32_e64 v55, v55, s6                                 // 000000006DC4: D1050037 00000D37
	v_exp_f32_e32 v52, v52                                     // 000000006DCC: 7E684134
	v_exp_f32_e32 v53, v53                                     // 000000006DD0: 7E6A4135
	v_exp_f32_e32 v54, v54                                     // 000000006DD4: 7E6C4136
	v_exp_f32_e32 v55, v55                                     // 000000006DD8: 7E6E4137
	buffer_load_dwordx4 a[20:23], v45, s[12:15], 0 offen offset:1024// 000000006DDC: E05C1400 8083142D
	v_add_f32_e64 v52, v52, 1.0                                // 000000006DE4: D1010034 0001E534
	v_add_f32_e64 v53, v53, 1.0                                // 000000006DEC: D1010035 0001E535
	v_add_f32_e64 v54, v54, 1.0                                // 000000006DF4: D1010036 0001E536
	v_add_f32_e64 v55, v55, 1.0                                // 000000006DFC: D1010037 0001E537
	v_rcp_f32_e32 v52, v52                                     // 000000006E04: 7E684534
	v_rcp_f32_e32 v53, v53                                     // 000000006E08: 7E6A4535
	v_rcp_f32_e32 v54, v54                                     // 000000006E0C: 7E6C4536
	v_rcp_f32_e32 v55, v55                                     // 000000006E10: 7E6E4537
	v_mul_f32_e32 v72, v72, v52                                // 000000006E14: 0A906948
	v_mul_f32_e32 v73, v73, v53                                // 000000006E18: 0A926B49
	v_mul_f32_e32 v74, v74, v54                                // 000000006E1C: 0A946D4A
	v_mul_f32_e32 v75, v75, v55                                // 000000006E20: 0A966F4B
	v_mul_f32_e32 v72, v72, v104                               // 000000006E24: 0A90D148
	v_mul_f32_e32 v73, v73, v105                               // 000000006E28: 0A92D349
	v_mul_f32_e32 v74, v74, v106                               // 000000006E2C: 0A94D54A
	v_mul_f32_e32 v75, v75, v107                               // 000000006E30: 0A96D74B
	buffer_load_dwordx4 a[24:27], v46, s[12:15], 0 offen       // 000000006E34: E05C1000 8083182E
	v_mul_f32_e32 v52, v76, v76                                // 000000006E3C: 0A68994C
	v_mul_f32_e32 v53, v77, v77                                // 000000006E40: 0A6A9B4D
	v_mul_f32_e32 v54, v78, v78                                // 000000006E44: 0A6C9D4E
	v_mul_f32_e32 v55, v79, v79                                // 000000006E48: 0A6E9F4F
	s_mov_b32 s3, 0xbd92220c                                   // 000000006E4C: BE8300FF BD92220C
	v_fma_f32 v52, v52, s3, v1                                 // 000000006E54: D1CB0034 04040734
	v_fma_f32 v53, v53, s3, v1                                 // 000000006E5C: D1CB0035 04040735
	v_fma_f32 v54, v54, s3, v1                                 // 000000006E64: D1CB0036 04040736
	v_fma_f32 v55, v55, s3, v1                                 // 000000006E6C: D1CB0037 04040737
	v_mul_f32_e32 v52, v52, v76                                // 000000006E74: 0A689934
	v_mul_f32_e32 v53, v53, v77                                // 000000006E78: 0A6A9B35
	v_mul_f32_e32 v54, v54, v78                                // 000000006E7C: 0A6C9D36
	v_mul_f32_e32 v55, v55, v79                                // 000000006E80: 0A6E9F37
	v_mul_f32_e64 v52, v52, s6                                 // 000000006E84: D1050034 00000D34
	v_mul_f32_e64 v53, v53, s6                                 // 000000006E8C: D1050035 00000D35
	v_mul_f32_e64 v54, v54, s6                                 // 000000006E94: D1050036 00000D36
	v_mul_f32_e64 v55, v55, s6                                 // 000000006E9C: D1050037 00000D37
	v_exp_f32_e32 v52, v52                                     // 000000006EA4: 7E684134
	v_exp_f32_e32 v53, v53                                     // 000000006EA8: 7E6A4135
	v_exp_f32_e32 v54, v54                                     // 000000006EAC: 7E6C4136
	v_exp_f32_e32 v55, v55                                     // 000000006EB0: 7E6E4137
	buffer_load_dwordx4 a[28:31], v46, s[12:15], 0 offen offset:1024// 000000006EB4: E05C1400 80831C2E
	s_add_u32 s12, s74, s12                                    // 000000006EBC: 800C0C4A
	s_addc_u32 s13, 0, s13                                     // 000000006EC0: 820D0D80
	v_add_f32_e64 v52, v52, 1.0                                // 000000006EC4: D1010034 0001E534
	v_add_f32_e64 v53, v53, 1.0                                // 000000006ECC: D1010035 0001E535
	v_add_f32_e64 v54, v54, 1.0                                // 000000006ED4: D1010036 0001E536
	v_add_f32_e64 v55, v55, 1.0                                // 000000006EDC: D1010037 0001E537
	v_rcp_f32_e32 v52, v52                                     // 000000006EE4: 7E684534
	v_rcp_f32_e32 v53, v53                                     // 000000006EE8: 7E6A4535
	v_rcp_f32_e32 v54, v54                                     // 000000006EEC: 7E6C4536
	v_rcp_f32_e32 v55, v55                                     // 000000006EF0: 7E6E4537
	v_mul_f32_e32 v76, v76, v52                                // 000000006EF4: 0A98694C
	v_mul_f32_e32 v77, v77, v53                                // 000000006EF8: 0A9A6B4D
	v_mul_f32_e32 v78, v78, v54                                // 000000006EFC: 0A9C6D4E
	v_mul_f32_e32 v79, v79, v55                                // 000000006F00: 0A9E6F4F
	v_mul_f32_e32 v76, v76, v108                               // 000000006F04: 0A98D94C
	v_mul_f32_e32 v77, v77, v109                               // 000000006F08: 0A9ADB4D
	v_mul_f32_e32 v78, v78, v110                               // 000000006F0C: 0A9CDD4E
	v_mul_f32_e32 v79, v79, v111                               // 000000006F10: 0A9EDF4F
	s_waitcnt vmcnt(12)                                        // 000000006F14: BF8C0F7C
	buffer_load_dwordx4 a[32:35], v43, s[12:15], 0 offen       // 000000006F18: E05C1000 8083202B
	v_mul_f32_e32 v52, v80, v80                                // 000000006F20: 0A68A150
	v_mul_f32_e32 v53, v81, v81                                // 000000006F24: 0A6AA351
	v_mul_f32_e32 v54, v82, v82                                // 000000006F28: 0A6CA552
	v_mul_f32_e32 v55, v83, v83                                // 000000006F2C: 0A6EA753
	s_mov_b32 s3, 0xbd92220c                                   // 000000006F30: BE8300FF BD92220C
	v_fma_f32 v52, v52, s3, v1                                 // 000000006F38: D1CB0034 04040734
	v_fma_f32 v53, v53, s3, v1                                 // 000000006F40: D1CB0035 04040735
	v_fma_f32 v54, v54, s3, v1                                 // 000000006F48: D1CB0036 04040736
	v_fma_f32 v55, v55, s3, v1                                 // 000000006F50: D1CB0037 04040737
	v_mul_f32_e32 v52, v52, v80                                // 000000006F58: 0A68A134
	v_mul_f32_e32 v53, v53, v81                                // 000000006F5C: 0A6AA335
	v_mul_f32_e32 v54, v54, v82                                // 000000006F60: 0A6CA536
	v_mul_f32_e32 v55, v55, v83                                // 000000006F64: 0A6EA737
	v_mul_f32_e64 v52, v52, s6                                 // 000000006F68: D1050034 00000D34
	v_mul_f32_e64 v53, v53, s6                                 // 000000006F70: D1050035 00000D35
	v_mul_f32_e64 v54, v54, s6                                 // 000000006F78: D1050036 00000D36
	v_mul_f32_e64 v55, v55, s6                                 // 000000006F80: D1050037 00000D37
	v_exp_f32_e32 v52, v52                                     // 000000006F88: 7E684134
	v_exp_f32_e32 v53, v53                                     // 000000006F8C: 7E6A4135
	v_exp_f32_e32 v54, v54                                     // 000000006F90: 7E6C4136
	v_exp_f32_e32 v55, v55                                     // 000000006F94: 7E6E4137
	buffer_load_dwordx4 a[36:39], v43, s[12:15], 0 offen offset:1024// 000000006F98: E05C1400 8083242B
	v_add_f32_e64 v52, v52, 1.0                                // 000000006FA0: D1010034 0001E534
	v_add_f32_e64 v53, v53, 1.0                                // 000000006FA8: D1010035 0001E535
	v_add_f32_e64 v54, v54, 1.0                                // 000000006FB0: D1010036 0001E536
	v_add_f32_e64 v55, v55, 1.0                                // 000000006FB8: D1010037 0001E537
	v_rcp_f32_e32 v52, v52                                     // 000000006FC0: 7E684534
	v_rcp_f32_e32 v53, v53                                     // 000000006FC4: 7E6A4535
	v_rcp_f32_e32 v54, v54                                     // 000000006FC8: 7E6C4536
	v_rcp_f32_e32 v55, v55                                     // 000000006FCC: 7E6E4537
	v_mul_f32_e32 v80, v80, v52                                // 000000006FD0: 0AA06950
	v_mul_f32_e32 v81, v81, v53                                // 000000006FD4: 0AA26B51
	v_mul_f32_e32 v82, v82, v54                                // 000000006FD8: 0AA46D52
	v_mul_f32_e32 v83, v83, v55                                // 000000006FDC: 0AA66F53
	v_mul_f32_e32 v80, v80, v112                               // 000000006FE0: 0AA0E150
	v_mul_f32_e32 v81, v81, v113                               // 000000006FE4: 0AA2E351
	v_mul_f32_e32 v82, v82, v114                               // 000000006FE8: 0AA4E552
	v_mul_f32_e32 v83, v83, v115                               // 000000006FEC: 0AA6E753
	buffer_load_dwordx4 a[40:43], v44, s[12:15], 0 offen       // 000000006FF0: E05C1000 8083282C
	v_mul_f32_e32 v52, v84, v84                                // 000000006FF8: 0A68A954
	v_mul_f32_e32 v53, v85, v85                                // 000000006FFC: 0A6AAB55
	v_mul_f32_e32 v54, v86, v86                                // 000000007000: 0A6CAD56
	v_mul_f32_e32 v55, v87, v87                                // 000000007004: 0A6EAF57
	s_mov_b32 s3, 0xbd92220c                                   // 000000007008: BE8300FF BD92220C
	v_fma_f32 v52, v52, s3, v1                                 // 000000007010: D1CB0034 04040734
	v_fma_f32 v53, v53, s3, v1                                 // 000000007018: D1CB0035 04040735
	v_fma_f32 v54, v54, s3, v1                                 // 000000007020: D1CB0036 04040736
	v_fma_f32 v55, v55, s3, v1                                 // 000000007028: D1CB0037 04040737
	v_mul_f32_e32 v52, v52, v84                                // 000000007030: 0A68A934
	v_mul_f32_e32 v53, v53, v85                                // 000000007034: 0A6AAB35
	v_mul_f32_e32 v54, v54, v86                                // 000000007038: 0A6CAD36
	v_mul_f32_e32 v55, v55, v87                                // 00000000703C: 0A6EAF37
	v_mul_f32_e64 v52, v52, s6                                 // 000000007040: D1050034 00000D34
	v_mul_f32_e64 v53, v53, s6                                 // 000000007048: D1050035 00000D35
	v_mul_f32_e64 v54, v54, s6                                 // 000000007050: D1050036 00000D36
	v_mul_f32_e64 v55, v55, s6                                 // 000000007058: D1050037 00000D37
	v_exp_f32_e32 v52, v52                                     // 000000007060: 7E684134
	v_exp_f32_e32 v53, v53                                     // 000000007064: 7E6A4135
	v_exp_f32_e32 v54, v54                                     // 000000007068: 7E6C4136
	v_exp_f32_e32 v55, v55                                     // 00000000706C: 7E6E4137
	buffer_load_dwordx4 a[44:47], v44, s[12:15], 0 offen offset:1024// 000000007070: E05C1400 80832C2C
	v_add_f32_e64 v52, v52, 1.0                                // 000000007078: D1010034 0001E534
	v_add_f32_e64 v53, v53, 1.0                                // 000000007080: D1010035 0001E535
	v_add_f32_e64 v54, v54, 1.0                                // 000000007088: D1010036 0001E536
	v_add_f32_e64 v55, v55, 1.0                                // 000000007090: D1010037 0001E537
	v_rcp_f32_e32 v52, v52                                     // 000000007098: 7E684534
	v_rcp_f32_e32 v53, v53                                     // 00000000709C: 7E6A4535
	v_rcp_f32_e32 v54, v54                                     // 0000000070A0: 7E6C4536
	v_rcp_f32_e32 v55, v55                                     // 0000000070A4: 7E6E4537
	v_mul_f32_e32 v84, v84, v52                                // 0000000070A8: 0AA86954
	v_mul_f32_e32 v85, v85, v53                                // 0000000070AC: 0AAA6B55
	v_mul_f32_e32 v86, v86, v54                                // 0000000070B0: 0AAC6D56
	v_mul_f32_e32 v87, v87, v55                                // 0000000070B4: 0AAE6F57
	v_mul_f32_e32 v84, v84, v116                               // 0000000070B8: 0AA8E954
	v_mul_f32_e32 v85, v85, v117                               // 0000000070BC: 0AAAEB55
	v_mul_f32_e32 v86, v86, v118                               // 0000000070C0: 0AACED56
	v_mul_f32_e32 v87, v87, v119                               // 0000000070C4: 0AAEEF57
	s_waitcnt vmcnt(12)                                        // 0000000070C8: BF8C0F7C
	buffer_load_dwordx4 a[48:51], v45, s[12:15], 0 offen       // 0000000070CC: E05C1000 8083302D
	v_mul_f32_e32 v52, v88, v88                                // 0000000070D4: 0A68B158
	v_mul_f32_e32 v53, v89, v89                                // 0000000070D8: 0A6AB359
	v_mul_f32_e32 v54, v90, v90                                // 0000000070DC: 0A6CB55A
	v_mul_f32_e32 v55, v91, v91                                // 0000000070E0: 0A6EB75B
	s_mov_b32 s3, 0xbd92220c                                   // 0000000070E4: BE8300FF BD92220C
	v_fma_f32 v52, v52, s3, v1                                 // 0000000070EC: D1CB0034 04040734
	v_fma_f32 v53, v53, s3, v1                                 // 0000000070F4: D1CB0035 04040735
	v_fma_f32 v54, v54, s3, v1                                 // 0000000070FC: D1CB0036 04040736
	v_fma_f32 v55, v55, s3, v1                                 // 000000007104: D1CB0037 04040737
	v_mul_f32_e32 v52, v52, v88                                // 00000000710C: 0A68B134
	v_mul_f32_e32 v53, v53, v89                                // 000000007110: 0A6AB335
	v_mul_f32_e32 v54, v54, v90                                // 000000007114: 0A6CB536
	v_mul_f32_e32 v55, v55, v91                                // 000000007118: 0A6EB737
	v_mul_f32_e64 v52, v52, s6                                 // 00000000711C: D1050034 00000D34
	v_mul_f32_e64 v53, v53, s6                                 // 000000007124: D1050035 00000D35
	v_mul_f32_e64 v54, v54, s6                                 // 00000000712C: D1050036 00000D36
	v_mul_f32_e64 v55, v55, s6                                 // 000000007134: D1050037 00000D37
	v_exp_f32_e32 v52, v52                                     // 00000000713C: 7E684134
	v_exp_f32_e32 v53, v53                                     // 000000007140: 7E6A4135
	v_exp_f32_e32 v54, v54                                     // 000000007144: 7E6C4136
	v_exp_f32_e32 v55, v55                                     // 000000007148: 7E6E4137
	buffer_load_dwordx4 a[52:55], v45, s[12:15], 0 offen offset:1024// 00000000714C: E05C1400 8083342D
	v_add_f32_e64 v52, v52, 1.0                                // 000000007154: D1010034 0001E534
	v_add_f32_e64 v53, v53, 1.0                                // 00000000715C: D1010035 0001E535
	v_add_f32_e64 v54, v54, 1.0                                // 000000007164: D1010036 0001E536
	v_add_f32_e64 v55, v55, 1.0                                // 00000000716C: D1010037 0001E537
	v_rcp_f32_e32 v52, v52                                     // 000000007174: 7E684534
	v_rcp_f32_e32 v53, v53                                     // 000000007178: 7E6A4535
	v_rcp_f32_e32 v54, v54                                     // 00000000717C: 7E6C4536
	v_rcp_f32_e32 v55, v55                                     // 000000007180: 7E6E4537
	v_mul_f32_e32 v88, v88, v52                                // 000000007184: 0AB06958
	v_mul_f32_e32 v89, v89, v53                                // 000000007188: 0AB26B59
	v_mul_f32_e32 v90, v90, v54                                // 00000000718C: 0AB46D5A
	v_mul_f32_e32 v91, v91, v55                                // 000000007190: 0AB66F5B
	v_mul_f32_e32 v88, v88, v120                               // 000000007194: 0AB0F158
	v_mul_f32_e32 v89, v89, v121                               // 000000007198: 0AB2F359
	v_mul_f32_e32 v90, v90, v122                               // 00000000719C: 0AB4F55A
	v_mul_f32_e32 v91, v91, v123                               // 0000000071A0: 0AB6F75B
	buffer_load_dwordx4 a[56:59], v46, s[12:15], 0 offen       // 0000000071A4: E05C1000 8083382E
	v_mul_f32_e32 v52, v92, v92                                // 0000000071AC: 0A68B95C
	v_mul_f32_e32 v53, v93, v93                                // 0000000071B0: 0A6ABB5D
	v_mul_f32_e32 v54, v94, v94                                // 0000000071B4: 0A6CBD5E
	v_mul_f32_e32 v55, v95, v95                                // 0000000071B8: 0A6EBF5F
	s_mov_b32 s3, 0xbd92220c                                   // 0000000071BC: BE8300FF BD92220C
	v_fma_f32 v52, v52, s3, v1                                 // 0000000071C4: D1CB0034 04040734
	v_fma_f32 v53, v53, s3, v1                                 // 0000000071CC: D1CB0035 04040735
	v_fma_f32 v54, v54, s3, v1                                 // 0000000071D4: D1CB0036 04040736
	v_fma_f32 v55, v55, s3, v1                                 // 0000000071DC: D1CB0037 04040737
	v_mul_f32_e32 v52, v52, v92                                // 0000000071E4: 0A68B934
	v_mul_f32_e32 v53, v53, v93                                // 0000000071E8: 0A6ABB35
	v_mul_f32_e32 v54, v54, v94                                // 0000000071EC: 0A6CBD36
	v_mul_f32_e32 v55, v55, v95                                // 0000000071F0: 0A6EBF37
	v_mul_f32_e64 v52, v52, s6                                 // 0000000071F4: D1050034 00000D34
	v_mul_f32_e64 v53, v53, s6                                 // 0000000071FC: D1050035 00000D35
	v_mul_f32_e64 v54, v54, s6                                 // 000000007204: D1050036 00000D36
	v_mul_f32_e64 v55, v55, s6                                 // 00000000720C: D1050037 00000D37
	v_exp_f32_e32 v52, v52                                     // 000000007214: 7E684134
	v_exp_f32_e32 v53, v53                                     // 000000007218: 7E6A4135
	v_exp_f32_e32 v54, v54                                     // 00000000721C: 7E6C4136
	v_exp_f32_e32 v55, v55                                     // 000000007220: 7E6E4137
	buffer_load_dwordx4 a[60:63], v46, s[12:15], 0 offen offset:1024// 000000007224: E05C1400 80833C2E
	v_add_f32_e64 v52, v52, 1.0                                // 00000000722C: D1010034 0001E534
	v_add_f32_e64 v53, v53, 1.0                                // 000000007234: D1010035 0001E535
	v_add_f32_e64 v54, v54, 1.0                                // 00000000723C: D1010036 0001E536
	v_add_f32_e64 v55, v55, 1.0                                // 000000007244: D1010037 0001E537
	v_rcp_f32_e32 v52, v52                                     // 00000000724C: 7E684534
	v_rcp_f32_e32 v53, v53                                     // 000000007250: 7E6A4535
	v_rcp_f32_e32 v54, v54                                     // 000000007254: 7E6C4536
	v_rcp_f32_e32 v55, v55                                     // 000000007258: 7E6E4537
	v_mul_f32_e32 v92, v92, v52                                // 00000000725C: 0AB8695C
	v_mul_f32_e32 v93, v93, v53                                // 000000007260: 0ABA6B5D
	v_mul_f32_e32 v94, v94, v54                                // 000000007264: 0ABC6D5E
	v_mul_f32_e32 v95, v95, v55                                // 000000007268: 0ABE6F5F
	v_mul_f32_e32 v92, v92, v124                               // 00000000726C: 0AB8F95C
	v_mul_f32_e32 v93, v93, v125                               // 000000007270: 0ABAFB5D
	v_mul_f32_e32 v94, v94, v126                               // 000000007274: 0ABCFD5E
	v_mul_f32_e32 v95, v95, v127                               // 000000007278: 0ABEFF5F
	buffer_load_dword v29, v8, s[16:19], 0 offen               // 00000000727C: E0501000 80041D08
	v_mov_b32_e32 v128, 0x358637bd                             // 000000007284: 7F0002FF 358637BD
	v_mov_b32_e32 v129, 0x358637bd                             // 00000000728C: 7F0202FF 358637BD
	v_max3_f32 v128, |v64|, |v65|, v128                        // 000000007294: D1D30380 06028340
	v_max3_f32 v128, |v66|, |v67|, v128                        // 00000000729C: D1D30380 06028742
	v_max3_f32 v129, |v68|, |v69|, v129                        // 0000000072A4: D1D30381 06068B44
	v_max3_f32 v129, |v70|, |v71|, v129                        // 0000000072AC: D1D30381 06068F46
	v_max3_f32 v128, |v72|, |v73|, v128                        // 0000000072B4: D1D30380 06029348
	v_max3_f32 v128, |v74|, |v75|, v128                        // 0000000072BC: D1D30380 0602974A
	v_max3_f32 v129, |v76|, |v77|, v129                        // 0000000072C4: D1D30381 06069B4C
	v_max3_f32 v129, |v78|, |v79|, v129                        // 0000000072CC: D1D30381 06069F4E
	v_mov_b32_e32 v52, v128                                    // 0000000072D4: 7E680380
	s_nop 1                                                    // 0000000072D8: BF800001
	v_permlane32_swap_b32_e32 v52, v128                        // 0000000072DC: 7E68B580
	v_max_f32_e32 v128, v52, v128                              // 0000000072E0: 17010134
	v_mov_b32_e32 v52, v128                                    // 0000000072E4: 7E680380
	s_nop 1                                                    // 0000000072E8: BF800001
	v_permlane16_swap_b32_e32 v52, v128                        // 0000000072EC: 7E68B380
	v_max_f32_e32 v128, v52, v128                              // 0000000072F0: 17010134
	v_mov_b32_e32 v52, v129                                    // 0000000072F4: 7E680381
	s_nop 1                                                    // 0000000072F8: BF800001
	v_permlane32_swap_b32_e32 v52, v129                        // 0000000072FC: 7E68B581
	v_max_f32_e32 v129, v52, v129                              // 000000007300: 17030334
	v_mov_b32_e32 v52, v129                                    // 000000007304: 7E680381
	s_nop 1                                                    // 000000007308: BF800001
	v_permlane16_swap_b32_e32 v52, v129                        // 00000000730C: 7E68B381
	v_max_f32_e32 v129, v52, v129                              // 000000007310: 17030334
	v_lshlrev_b32_e32 v52, 2, v0                               // 000000007314: 24680082
	s_mul_i32 s56, 64, s7                                      // 000000007318: 923807C0
	v_add_u32_e32 v52, s56, v52                                // 00000000731C: 68686838
	s_mov_b32 s56, 0xffff                                      // 000000007320: BEB800FF 0000FFFF
	s_mov_b32 s57, 0                                           // 000000007328: BEB90080
	s_mov_b64 exec, s[56:57]                                   // 00000000732C: BEFE0138
	ds_write_b32 v52, v128 offset:18944                        // 000000007330: D81A4A00 00008034
	ds_write_b32 v52, v129 offset:19200                        // 000000007338: D81A4B00 00008134
	s_mov_b32 s56, -1                                          // 000000007340: BEB800C1
	s_mov_b32 s57, -1                                          // 000000007344: BEB900C1
	s_mov_b64 exec, s[56:57]                                   // 000000007348: BEFE0138
	s_waitcnt lgkmcnt(0)                                       // 00000000734C: BF8CC07F
	s_barrier                                                  // 000000007350: BF8A0000
	v_lshlrev_b32_e32 v52, 2, v0                               // 000000007354: 24680082
	ds_read_b32 v254, v52 offset:18944                         // 000000007358: D86C4A00 FE000034
	ds_read_b32 v255, v52 offset:19200                         // 000000007360: D86C4B00 FF000034
	s_waitcnt lgkmcnt(0)                                       // 000000007368: BF8CC07F
	v_mov_b32_e32 v52, v254                                    // 00000000736C: 7E6803FE
	s_nop 1                                                    // 000000007370: BF800001
	v_permlane32_swap_b32_e32 v52, v254                        // 000000007374: 7E68B5FE
	v_max_f32_e32 v254, v52, v254                              // 000000007378: 17FDFD34
	v_mov_b32_e32 v52, v254                                    // 00000000737C: 7E6803FE
	s_nop 1                                                    // 000000007380: BF800001
	v_permlane16_swap_b32_e32 v52, v254                        // 000000007384: 7E68B3FE
	v_max_f32_e32 v254, v52, v254                              // 000000007388: 17FDFD34
	v_mov_b32_e32 v52, v255                                    // 00000000738C: 7E6803FF
	s_nop 1                                                    // 000000007390: BF800001
	v_permlane32_swap_b32_e32 v52, v255                        // 000000007394: 7E68B5FF
	v_max_f32_e32 v255, v52, v255                              // 000000007398: 17FFFF34
	v_mov_b32_e32 v52, v255                                    // 00000000739C: 7E6803FF
	s_nop 1                                                    // 0000000073A0: BF800001
	v_permlane16_swap_b32_e32 v52, v255                        // 0000000073A4: 7E68B3FF
	v_max_f32_e32 v255, v52, v255                              // 0000000073A8: 17FFFF34
	v_max_f32_e32 v128, v254, v128                             // 0000000073AC: 170101FE
	v_max_f32_e32 v129, v255, v129                             // 0000000073B0: 170303FF
	v_rcp_f32_e32 v128, v128                                   // 0000000073B4: 7F004580
	v_rcp_f32_e32 v129, v129                                   // 0000000073B8: 7F024581
	v_mov_b32_e32 v52, 0x43e00000                              // 0000000073BC: 7E6802FF 43E00000
	v_mul_f32_e32 v128, v52, v128                              // 0000000073C4: 0B010134
	v_mul_f32_e32 v129, v52, v129                              // 0000000073C8: 0B030334
	v_mul_f32_e32 v64, v128, v64                               // 0000000073CC: 0A808180
	v_mul_f32_e32 v65, v128, v65                               // 0000000073D0: 0A828380
	v_mul_f32_e32 v66, v128, v66                               // 0000000073D4: 0A848580
	v_mul_f32_e32 v67, v128, v67                               // 0000000073D8: 0A868780
	v_cvt_pk_fp8_f32 v64, v64, v65                             // 0000000073DC: D2A20040 00028340
	v_cvt_pk_fp8_f32 v64, v66, v67 op_sel:[0,0,1]              // 0000000073E4: D2A24040 00028742
	v_mul_f32_e32 v68, v129, v68                               // 0000000073EC: 0A888981
	v_mul_f32_e32 v69, v129, v69                               // 0000000073F0: 0A8A8B81
	v_mul_f32_e32 v70, v129, v70                               // 0000000073F4: 0A8C8D81
	v_mul_f32_e32 v71, v129, v71                               // 0000000073F8: 0A8E8F81
	v_cvt_pk_fp8_f32 v65, v68, v69                             // 0000000073FC: D2A20041 00028B44
	v_cvt_pk_fp8_f32 v65, v70, v71 op_sel:[0,0,1]              // 000000007404: D2A24041 00028F46
	v_mul_f32_e32 v72, v128, v72                               // 00000000740C: 0A909180
	v_mul_f32_e32 v73, v128, v73                               // 000000007410: 0A929380
	v_mul_f32_e32 v74, v128, v74                               // 000000007414: 0A949580
	v_mul_f32_e32 v75, v128, v75                               // 000000007418: 0A969780
	v_cvt_pk_fp8_f32 v66, v72, v73                             // 00000000741C: D2A20042 00029348
	v_cvt_pk_fp8_f32 v66, v74, v75 op_sel:[0,0,1]              // 000000007424: D2A24042 0002974A
	v_mul_f32_e32 v76, v129, v76                               // 00000000742C: 0A989981
	v_mul_f32_e32 v77, v129, v77                               // 000000007430: 0A9A9B81
	v_mul_f32_e32 v78, v129, v78                               // 000000007434: 0A9C9D81
	v_mul_f32_e32 v79, v129, v79                               // 000000007438: 0A9E9F81
	v_cvt_pk_fp8_f32 v67, v76, v77                             // 00000000743C: D2A20043 00029B4C
	v_cvt_pk_fp8_f32 v67, v78, v79 op_sel:[0,0,1]              // 000000007444: D2A24043 00029F4E
	v_rcp_f32_e32 v21, v128                                    // 00000000744C: 7E2A4580
	v_rcp_f32_e32 v22, v129                                    // 000000007450: 7E2C4581
	v_mov_b32_e32 v130, 0x358637bd                             // 000000007454: 7F0402FF 358637BD
	v_mov_b32_e32 v131, 0x358637bd                             // 00000000745C: 7F0602FF 358637BD
	v_max3_f32 v130, |v80|, |v81|, v130                        // 000000007464: D1D30382 060AA350
	v_max3_f32 v130, |v82|, |v83|, v130                        // 00000000746C: D1D30382 060AA752
	v_max3_f32 v131, |v84|, |v85|, v131                        // 000000007474: D1D30383 060EAB54
	v_max3_f32 v131, |v86|, |v87|, v131                        // 00000000747C: D1D30383 060EAF56
	v_max3_f32 v130, |v88|, |v89|, v130                        // 000000007484: D1D30382 060AB358
	v_max3_f32 v130, |v90|, |v91|, v130                        // 00000000748C: D1D30382 060AB75A
	v_max3_f32 v131, |v92|, |v93|, v131                        // 000000007494: D1D30383 060EBB5C
	v_max3_f32 v131, |v94|, |v95|, v131                        // 00000000749C: D1D30383 060EBF5E
	v_mov_b32_e32 v52, v130                                    // 0000000074A4: 7E680382
	s_nop 1                                                    // 0000000074A8: BF800001
	v_permlane32_swap_b32_e32 v52, v130                        // 0000000074AC: 7E68B582
	v_max_f32_e32 v130, v52, v130                              // 0000000074B0: 17050534
	v_mov_b32_e32 v52, v130                                    // 0000000074B4: 7E680382
	s_nop 1                                                    // 0000000074B8: BF800001
	v_permlane16_swap_b32_e32 v52, v130                        // 0000000074BC: 7E68B382
	v_max_f32_e32 v130, v52, v130                              // 0000000074C0: 17050534
	v_mov_b32_e32 v52, v131                                    // 0000000074C4: 7E680383
	s_nop 1                                                    // 0000000074C8: BF800001
	v_permlane32_swap_b32_e32 v52, v131                        // 0000000074CC: 7E68B583
	v_max_f32_e32 v131, v52, v131                              // 0000000074D0: 17070734
	v_mov_b32_e32 v52, v131                                    // 0000000074D4: 7E680383
	s_nop 1                                                    // 0000000074D8: BF800001
	v_permlane16_swap_b32_e32 v52, v131                        // 0000000074DC: 7E68B383
	v_max_f32_e32 v131, v52, v131                              // 0000000074E0: 17070734
	v_lshlrev_b32_e32 v52, 2, v0                               // 0000000074E4: 24680082
	s_mul_i32 s56, 64, s7                                      // 0000000074E8: 923807C0
	v_add_u32_e32 v52, s56, v52                                // 0000000074EC: 68686838
	s_mov_b32 s56, 0xffff                                      // 0000000074F0: BEB800FF 0000FFFF
	s_mov_b32 s57, 0                                           // 0000000074F8: BEB90080
	s_mov_b64 exec, s[56:57]                                   // 0000000074FC: BEFE0138
	ds_write_b32 v52, v130 offset:18944                        // 000000007500: D81A4A00 00008234
	ds_write_b32 v52, v131 offset:19200                        // 000000007508: D81A4B00 00008334
	s_mov_b32 s56, -1                                          // 000000007510: BEB800C1
	s_mov_b32 s57, -1                                          // 000000007514: BEB900C1
	s_mov_b64 exec, s[56:57]                                   // 000000007518: BEFE0138
	s_waitcnt lgkmcnt(0)                                       // 00000000751C: BF8CC07F
	s_barrier                                                  // 000000007520: BF8A0000
	v_lshlrev_b32_e32 v52, 2, v0                               // 000000007524: 24680082
	ds_read_b32 v254, v52 offset:18944                         // 000000007528: D86C4A00 FE000034
	ds_read_b32 v255, v52 offset:19200                         // 000000007530: D86C4B00 FF000034
	s_waitcnt lgkmcnt(0)                                       // 000000007538: BF8CC07F
	v_mov_b32_e32 v52, v254                                    // 00000000753C: 7E6803FE
	s_nop 1                                                    // 000000007540: BF800001
	v_permlane32_swap_b32_e32 v52, v254                        // 000000007544: 7E68B5FE
	v_max_f32_e32 v254, v52, v254                              // 000000007548: 17FDFD34
	v_mov_b32_e32 v52, v254                                    // 00000000754C: 7E6803FE
	s_nop 1                                                    // 000000007550: BF800001
	v_permlane16_swap_b32_e32 v52, v254                        // 000000007554: 7E68B3FE
	v_max_f32_e32 v254, v52, v254                              // 000000007558: 17FDFD34
	v_mov_b32_e32 v52, v255                                    // 00000000755C: 7E6803FF
	s_nop 1                                                    // 000000007560: BF800001
	v_permlane32_swap_b32_e32 v52, v255                        // 000000007564: 7E68B5FF
	v_max_f32_e32 v255, v52, v255                              // 000000007568: 17FFFF34
	v_mov_b32_e32 v52, v255                                    // 00000000756C: 7E6803FF
	s_nop 1                                                    // 000000007570: BF800001
	v_permlane16_swap_b32_e32 v52, v255                        // 000000007574: 7E68B3FF
	v_max_f32_e32 v255, v52, v255                              // 000000007578: 17FFFF34
	v_max_f32_e32 v130, v254, v130                             // 00000000757C: 170505FE
	v_max_f32_e32 v131, v255, v131                             // 000000007580: 170707FF
	v_rcp_f32_e32 v130, v130                                   // 000000007584: 7F044582
	v_rcp_f32_e32 v131, v131                                   // 000000007588: 7F064583
	v_mov_b32_e32 v52, 0x43e00000                              // 00000000758C: 7E6802FF 43E00000
	v_mul_f32_e32 v130, v52, v130                              // 000000007594: 0B050534
	v_mul_f32_e32 v131, v52, v131                              // 000000007598: 0B070734
	v_mul_f32_e32 v80, v130, v80                               // 00000000759C: 0AA0A182
	v_mul_f32_e32 v81, v130, v81                               // 0000000075A0: 0AA2A382
	v_mul_f32_e32 v82, v130, v82                               // 0000000075A4: 0AA4A582
	v_mul_f32_e32 v83, v130, v83                               // 0000000075A8: 0AA6A782
	v_cvt_pk_fp8_f32 v68, v80, v81                             // 0000000075AC: D2A20044 0002A350
	v_cvt_pk_fp8_f32 v68, v82, v83 op_sel:[0,0,1]              // 0000000075B4: D2A24044 0002A752
	v_mul_f32_e32 v84, v131, v84                               // 0000000075BC: 0AA8A983
	v_mul_f32_e32 v85, v131, v85                               // 0000000075C0: 0AAAAB83
	v_mul_f32_e32 v86, v131, v86                               // 0000000075C4: 0AACAD83
	v_mul_f32_e32 v87, v131, v87                               // 0000000075C8: 0AAEAF83
	v_cvt_pk_fp8_f32 v69, v84, v85                             // 0000000075CC: D2A20045 0002AB54
	v_cvt_pk_fp8_f32 v69, v86, v87 op_sel:[0,0,1]              // 0000000075D4: D2A24045 0002AF56
	v_mul_f32_e32 v88, v130, v88                               // 0000000075DC: 0AB0B182
	v_mul_f32_e32 v89, v130, v89                               // 0000000075E0: 0AB2B382
	v_mul_f32_e32 v90, v130, v90                               // 0000000075E4: 0AB4B582
	v_mul_f32_e32 v91, v130, v91                               // 0000000075E8: 0AB6B782
	v_cvt_pk_fp8_f32 v70, v88, v89                             // 0000000075EC: D2A20046 0002B358
	v_cvt_pk_fp8_f32 v70, v90, v91 op_sel:[0,0,1]              // 0000000075F4: D2A24046 0002B75A
	v_mul_f32_e32 v92, v131, v92                               // 0000000075FC: 0AB8B983
	v_mul_f32_e32 v93, v131, v93                               // 000000007600: 0ABABB83
	v_mul_f32_e32 v94, v131, v94                               // 000000007604: 0ABCBD83
	v_mul_f32_e32 v95, v131, v95                               // 000000007608: 0ABEBF83
	v_cvt_pk_fp8_f32 v71, v92, v93                             // 00000000760C: D2A20047 0002BB5C
	v_cvt_pk_fp8_f32 v71, v94, v95 op_sel:[0,0,1]              // 000000007614: D2A24047 0002BF5E
	v_rcp_f32_e32 v23, v130                                    // 00000000761C: 7E2E4582
	v_rcp_f32_e32 v24, v131                                    // 000000007620: 7E304583
	v_lshrrev_b32_e32 v52, 5, v0                               // 000000007624: 20680085
	v_lshlrev_b32_e32 v53, 6, v52                              // 000000007628: 246A6886
	v_and_b32_e32 v52, 31, v0                                  // 00000000762C: 2668009F
	v_lshrrev_b32_e32 v54, 4, v52                              // 000000007630: 206C6884
	v_add_u32_e32 v53, v54, v53                                // 000000007634: 686A6B36
	v_and_b32_e32 v52, 15, v0                                  // 000000007638: 2668008F
	v_lshlrev_b32_e32 v52, 1, v52                              // 00000000763C: 24686881
	v_add_u32_e32 v53, v52, v53                                // 000000007640: 686A6B34
	v_lshlrev_b32_e32 v52, 2, v53                              // 000000007644: 24686A82
	s_mov_b32 s56, 0                                           // 000000007648: BEB80080
	s_lshr_b32 s57, s7, 1                                      // 00000000764C: 8F398107
	s_mul_i32 s57, s57, 0x200                                  // 000000007650: 9239FF39 00000200
	s_add_u32 s56, s57, s56                                    // 000000007658: 80383839
	s_and_b32 s57, s7, 1                                       // 00000000765C: 86398107
	s_mul_i32 s57, s57, 0x80                                   // 000000007660: 9239FF39 00000080
	s_add_u32 s56, s57, s56                                    // 000000007668: 80383839
	v_add_u32_e64 v52, v52, s56                                // 00000000766C: D1340034 00007134
	ds_write_b32 v52, v64 offset:20992                         // 000000007674: D81A5200 00004034
	ds_write_b32 v52, v65 offset:25088                         // 00000000767C: D81A6200 00004134
	ds_write_b32 v52, v66 offset:22016                         // 000000007684: D81A5600 00004234
	ds_write_b32 v52, v67 offset:26112                         // 00000000768C: D81A6600 00004334
	ds_write_b32 v52, v68 offset:23040                         // 000000007694: D81A5A00 00004434
	ds_write_b32 v52, v69 offset:27136                         // 00000000769C: D81A6A00 00004534
	ds_write_b32 v52, v70 offset:24064                         // 0000000076A4: D81A5E00 00004634
	ds_write_b32 v52, v71 offset:28160                         // 0000000076AC: D81A6E00 00004734
	s_waitcnt lgkmcnt(0)                                       // 0000000076B4: BF8CC07F
	s_barrier                                                  // 0000000076B8: BF8A0000
	v_and_b32_e32 v52, 31, v0                                  // 0000000076BC: 2668009F
	v_lshrrev_b32_e32 v52, 4, v52                              // 0000000076C0: 20686884
	v_lshlrev_b32_e32 v53, 5, v52                              // 0000000076C4: 246A6885
	v_lshrrev_b32_e32 v52, 5, v0                               // 0000000076C8: 20680085
	v_lshlrev_b32_e32 v52, 7, v52                              // 0000000076CC: 24686887
	v_add_u32_e32 v53, v52, v53                                // 0000000076D0: 686A6B34
	v_and_b32_e32 v52, 15, v0                                  // 0000000076D4: 2668008F
	v_lshlrev_b32_e32 v52, 1, v52                              // 0000000076D8: 24686881
	v_add_u32_e32 v53, v52, v53                                // 0000000076DC: 686A6B34
	v_lshlrev_b32_e32 v52, 2, v53                              // 0000000076E0: 24686A82
	ds_read_b64 a[128:129], v52 offset:20992                   // 0000000076E4: DAEC5200 80000034
	ds_read_b64 a[130:131], v52 offset:21248                   // 0000000076EC: DAEC5300 82000034
	ds_read_b64 a[132:133], v52 offset:22016                   // 0000000076F4: DAEC5600 84000034
	ds_read_b64 a[134:135], v52 offset:22272                   // 0000000076FC: DAEC5700 86000034
	ds_read_b64 a[136:137], v52 offset:23040                   // 000000007704: DAEC5A00 88000034
	ds_read_b64 a[138:139], v52 offset:23296                   // 00000000770C: DAEC5B00 8A000034
	ds_read_b64 a[140:141], v52 offset:24064                   // 000000007714: DAEC5E00 8C000034
	ds_read_b64 a[142:143], v52 offset:24320                   // 00000000771C: DAEC5F00 8E000034
	ds_read_b64 a[144:145], v52 offset:25088                   // 000000007724: DAEC6200 90000034
	ds_read_b64 a[146:147], v52 offset:25344                   // 00000000772C: DAEC6300 92000034
	ds_read_b64 a[148:149], v52 offset:26112                   // 000000007734: DAEC6600 94000034
	ds_read_b64 a[150:151], v52 offset:26368                   // 00000000773C: DAEC6700 96000034
	ds_read_b64 a[152:153], v52 offset:27136                   // 000000007744: DAEC6A00 98000034
	ds_read_b64 a[154:155], v52 offset:27392                   // 00000000774C: DAEC6B00 9A000034
	ds_read_b64 a[156:157], v52 offset:28160                   // 000000007754: DAEC6E00 9C000034
	ds_read_b64 a[158:159], v52 offset:28416                   // 00000000775C: DAEC6F00 9E000034
	v_lshlrev_b32_e32 v52, 2, v0                               // 000000007764: 24680082
	s_mul_i32 s56, s78, s67                                    // 000000007768: 9238434E
	v_add_u32_e64 v80, v52, s56                                // 00000000776C: D1340050 00007134
	v_mov_b32_e32 v81, 0                                       // 000000007774: 7EA20280
	s_mul_i32 s56, s79, s67                                    // 000000007778: 9238434F
	v_add_u32_e64 v82, v52, s56                                // 00000000777C: D1340052 00007134
	v_mov_b32_e32 v83, 0                                       // 000000007784: 7EA60280
	s_mul_i32 s56, s80, s67                                    // 000000007788: 92384350
	v_add_u32_e64 v84, v52, s56                                // 00000000778C: D1340054 00007134
	v_mov_b32_e32 v85, 0                                       // 000000007794: 7EAA0280
	s_mul_i32 s56, s81, s67                                    // 000000007798: 92384351
	v_add_u32_e64 v86, v52, s56                                // 00000000779C: D1340056 00007134
	v_mov_b32_e32 v87, 0                                       // 0000000077A4: 7EAE0280
	s_mul_i32 s56, s82, s67                                    // 0000000077A8: 92384352
	v_add_u32_e64 v88, v52, s56                                // 0000000077AC: D1340058 00007134
	v_mov_b32_e32 v89, 0                                       // 0000000077B4: 7EB20280
	s_mul_i32 s56, s83, s67                                    // 0000000077B8: 92384353
	v_add_u32_e64 v90, v52, s56                                // 0000000077BC: D134005A 00007134
	v_mov_b32_e32 v91, 0                                       // 0000000077C4: 7EB60280
	s_mul_i32 s56, s84, s67                                    // 0000000077C8: 92384354
	v_add_u32_e64 v92, v52, s56                                // 0000000077CC: D134005C 00007134
	v_mov_b32_e32 v93, 0                                       // 0000000077D4: 7EBA0280
	s_mul_i32 s56, s85, s67                                    // 0000000077D8: 92384355
	v_add_u32_e64 v94, v52, s56                                // 0000000077DC: D134005E 00007134
	v_mov_b32_e32 v95, 0                                       // 0000000077E4: 7EBE0280
	s_add_u32 s12, s52, s12                                    // 0000000077E8: 800C0C34
	s_addc_u32 s13, 0, s13                                     // 0000000077EC: 820D0D80
	s_add_u32 s16, s75, s16                                    // 0000000077F0: 8010104B
	s_addc_u32 s17, 0, s17                                     // 0000000077F4: 82111180
	s_waitcnt lgkmcnt(0)                                       // 0000000077F8: BF8CC07F
	s_barrier                                                  // 0000000077FC: BF8A0000
	v_mov_b32_e32 v160, 0                                      // 000000007800: 7F400280
	v_mov_b32_e32 v192, 0                                      // 000000007804: 7F800280
	v_mov_b32_e32 v161, 0                                      // 000000007808: 7F420280
	v_mov_b32_e32 v193, 0                                      // 00000000780C: 7F820280
	v_mov_b32_e32 v162, 0                                      // 000000007810: 7F440280
	v_mov_b32_e32 v194, 0                                      // 000000007814: 7F840280
	v_mov_b32_e32 v163, 0                                      // 000000007818: 7F460280
	v_mov_b32_e32 v195, 0                                      // 00000000781C: 7F860280
	v_mov_b32_e32 v164, 0                                      // 000000007820: 7F480280
	v_mov_b32_e32 v196, 0                                      // 000000007824: 7F880280
	v_mov_b32_e32 v165, 0                                      // 000000007828: 7F4A0280
	v_mov_b32_e32 v197, 0                                      // 00000000782C: 7F8A0280
	v_mov_b32_e32 v166, 0                                      // 000000007830: 7F4C0280
	v_mov_b32_e32 v198, 0                                      // 000000007834: 7F8C0280
	v_mov_b32_e32 v167, 0                                      // 000000007838: 7F4E0280
	v_mov_b32_e32 v199, 0                                      // 00000000783C: 7F8E0280
	v_mov_b32_e32 v168, 0                                      // 000000007840: 7F500280
	v_mov_b32_e32 v200, 0                                      // 000000007844: 7F900280
	v_mov_b32_e32 v169, 0                                      // 000000007848: 7F520280
	v_mov_b32_e32 v201, 0                                      // 00000000784C: 7F920280
	v_mov_b32_e32 v170, 0                                      // 000000007850: 7F540280
	v_mov_b32_e32 v202, 0                                      // 000000007854: 7F940280
	v_mov_b32_e32 v171, 0                                      // 000000007858: 7F560280
	v_mov_b32_e32 v203, 0                                      // 00000000785C: 7F960280
	v_mov_b32_e32 v172, 0                                      // 000000007860: 7F580280
	v_mov_b32_e32 v204, 0                                      // 000000007864: 7F980280
	v_mov_b32_e32 v173, 0                                      // 000000007868: 7F5A0280
	v_mov_b32_e32 v205, 0                                      // 00000000786C: 7F9A0280
	v_mov_b32_e32 v174, 0                                      // 000000007870: 7F5C0280
	v_mov_b32_e32 v206, 0                                      // 000000007874: 7F9C0280
	v_mov_b32_e32 v175, 0                                      // 000000007878: 7F5E0280
	v_mov_b32_e32 v207, 0                                      // 00000000787C: 7F9E0280
	ds_write_b64 v4, v[160:161] offset:20992                   // 000000007880: D89A5200 0000A004
	ds_write_b64 v4, v[162:163] offset:29696                   // 000000007888: D89A7400 0000A204
	ds_write_b64 v4, v[164:165] offset:23168                   // 000000007890: D89A5A80 0000A404
	ds_write_b64 v4, v[166:167] offset:31872                   // 000000007898: D89A7C80 0000A604
	ds_write_b64 v4, v[168:169] offset:25344                   // 0000000078A0: D89A6300 0000A804
	ds_write_b64 v4, v[170:171] offset:34048                   // 0000000078A8: D89A8500 0000AA04
	ds_write_b64 v4, v[172:173] offset:27520                   // 0000000078B0: D89A6B80 0000AC04
	ds_write_b64 v4, v[174:175] offset:36224                   // 0000000078B8: D89A8D80 0000AE04
	s_mov_b32 s76, 0                                           // 0000000078C0: BECC0080
	s_waitcnt vmcnt(0) expcnt(0) lgkmcnt(0)                    // 0000000078C4: BF8C0000

00000000000078c8 <label_12B2>:
	s_waitcnt vmcnt(28) lgkmcnt(0)                             // 0000000078C8: BF8C407C
	s_barrier                                                  // 0000000078CC: BF8A0000
	v_mfma_f32_16x16x128_f8f6f4 v[160:163], a[0:7], a[128:135], 0// 0000000078D0: D3AD00A0 1A030100
	buffer_load_dwordx4 a[64:67], v43, s[12:15], 0 offen       // 0000000078D8: E05C1000 8083402B
	buffer_load_dwordx4 a[68:71], v43, s[12:15], 0 offen offset:1024// 0000000078E0: E05C1400 8083442B
	v_mfma_f32_16x16x128_f8f6f4 v[164:167], a[0:7], a[144:151], 0// 0000000078E8: D3AD00A4 1A032100
	ds_read_b32 v64, v6 offset:20992                           // 0000000078F0: D86C5200 40000006
	ds_read_b32 v65, v6 offset:25344                           // 0000000078F8: D86C6300 41000006
	ds_read_b32 v66, v6 offset:21000                           // 000000007900: D86C5208 42000006
	ds_read_b32 v67, v6 offset:25352                           // 000000007908: D86C6308 43000006
	v_mfma_f32_16x16x128_f8f6f4 v[168:171], a[8:15], a[128:135], 0// 000000007910: D3AD00A8 1A030108
	buffer_load_dwordx4 a[72:75], v44, s[12:15], 0 offen       // 000000007918: E05C1000 8083482C
	buffer_load_dwordx4 a[76:79], v44, s[12:15], 0 offen offset:1024// 000000007920: E05C1400 80834C2C
	buffer_load_dword v30, v8, s[16:19], 0 offen               // 000000007928: E0501000 80041E08
	v_mfma_f32_16x16x128_f8f6f4 v[172:175], a[8:15], a[144:151], 0// 000000007930: D3AD00AC 1A032108
	ds_read_b32 v68, v6 offset:21024                           // 000000007938: D86C5220 44000006
	ds_read_b32 v69, v6 offset:25376                           // 000000007940: D86C6320 45000006
	ds_read_b32 v70, v6 offset:21032                           // 000000007948: D86C5228 46000006
	ds_read_b32 v71, v6 offset:25384                           // 000000007950: D86C6328 47000006
	s_waitcnt vmcnt(29)                                        // 000000007958: BF8C4F7D
	v_mfma_f32_16x16x128_f8f6f4 v[176:179], a[16:23], a[128:135], 0// 00000000795C: D3AD00B0 1A030110
	buffer_load_dwordx4 a[80:83], v45, s[12:15], 0 offen       // 000000007964: E05C1000 8083502D
	buffer_load_dwordx4 a[84:87], v45, s[12:15], 0 offen offset:1024// 00000000796C: E05C1400 8083542D
	v_mfma_f32_16x16x128_f8f6f4 v[180:183], a[16:23], a[144:151], 0// 000000007974: D3AD00B4 1A032110
	ds_read_b32 v72, v6 offset:29696                           // 00000000797C: D86C7400 48000006
	ds_read_b32 v73, v6 offset:34048                           // 000000007984: D86C8500 49000006
	ds_read_b32 v74, v6 offset:29704                           // 00000000798C: D86C7408 4A000006
	ds_read_b32 v75, v6 offset:34056                           // 000000007994: D86C8508 4B000006
	v_mfma_f32_16x16x128_f8f6f4 v[184:187], a[24:31], a[128:135], 0// 00000000799C: D3AD00B8 1A030118
	buffer_load_dwordx4 a[88:91], v46, s[12:15], 0 offen       // 0000000079A4: E05C1000 8083582E
	buffer_load_dwordx4 a[92:95], v46, s[12:15], 0 offen offset:1024// 0000000079AC: E05C1400 80835C2E
	s_add_u32 s12, s74, s12                                    // 0000000079B4: 800C0C4A
	s_addc_u32 s13, 0, s13                                     // 0000000079B8: 820D0D80
	v_mfma_f32_16x16x128_f8f6f4 v[188:191], a[24:31], a[144:151], 0// 0000000079BC: D3AD00BC 1A032118
	ds_read_b32 v76, v6 offset:29728                           // 0000000079C4: D86C7420 4C000006
	ds_read_b32 v77, v6 offset:34080                           // 0000000079CC: D86C8520 4D000006
	ds_read_b32 v78, v6 offset:29736                           // 0000000079D4: D86C7428 4E000006
	ds_read_b32 v79, v6 offset:34088                           // 0000000079DC: D86C8528 4F000006
	v_mul_f32_dpp v52, v29, v21 row_newbcast:0 row_mask:0xf bank_mask:0xf// 0000000079E4: 0A682AFA FF01501D
	v_mov_b32_e32 v53, v52                                     // 0000000079EC: 7E6A0334
	v_pk_mul_f32 v[160:161], v[52:53], v[160:161]              // 0000000079F0: D3B140A0 18034134
	v_pk_mul_f32 v[162:163], v[52:53], v[162:163]              // 0000000079F8: D3B140A2 18034534
	v_pk_mul_f32 v[168:169], v[52:53], v[168:169]              // 000000007A00: D3B140A8 18035134
	v_pk_mul_f32 v[170:171], v[52:53], v[170:171]              // 000000007A08: D3B140AA 18035534
	v_mul_f32_dpp v52, v29, v21 row_newbcast:1 row_mask:0xf bank_mask:0xf// 000000007A10: 0A682AFA FF01511D
	v_mov_b32_e32 v53, v52                                     // 000000007A18: 7E6A0334
	v_pk_mul_f32 v[176:177], v[52:53], v[176:177]              // 000000007A1C: D3B140B0 18036134
	v_pk_mul_f32 v[178:179], v[52:53], v[178:179]              // 000000007A24: D3B140B2 18036534
	v_pk_mul_f32 v[184:185], v[52:53], v[184:185]              // 000000007A2C: D3B140B8 18037134
	v_pk_mul_f32 v[186:187], v[52:53], v[186:187]              // 000000007A34: D3B140BA 18037534
	v_mul_f32_dpp v52, v29, v22 row_newbcast:0 row_mask:0xf bank_mask:0xf// 000000007A3C: 0A682CFA FF01501D
	v_mov_b32_e32 v53, v52                                     // 000000007A44: 7E6A0334
	v_pk_mul_f32 v[164:165], v[52:53], v[164:165]              // 000000007A48: D3B140A4 18034934
	v_pk_mul_f32 v[166:167], v[52:53], v[166:167]              // 000000007A50: D3B140A6 18034D34
	v_pk_mul_f32 v[172:173], v[52:53], v[172:173]              // 000000007A58: D3B140AC 18035934
	v_pk_mul_f32 v[174:175], v[52:53], v[174:175]              // 000000007A60: D3B140AE 18035D34
	v_mul_f32_dpp v52, v29, v22 row_newbcast:1 row_mask:0xf bank_mask:0xf// 000000007A68: 0A682CFA FF01511D
	v_mov_b32_e32 v53, v52                                     // 000000007A70: 7E6A0334
	v_pk_mul_f32 v[180:181], v[52:53], v[180:181]              // 000000007A74: D3B140B4 18036934
	v_pk_mul_f32 v[182:183], v[52:53], v[182:183]              // 000000007A7C: D3B140B6 18036D34
	v_pk_mul_f32 v[188:189], v[52:53], v[188:189]              // 000000007A84: D3B140BC 18037934
	v_pk_mul_f32 v[190:191], v[52:53], v[190:191]              // 000000007A8C: D3B140BE 18037D34
	s_waitcnt vmcnt(29)                                        // 000000007A94: BF8C4F7D
	v_mfma_f32_16x16x128_f8f6f4 v[128:131], a[32:39], a[136:143], 0// 000000007A98: D3AD0080 1A031120
	buffer_load_dwordx4 a[96:99], v43, s[12:15], 0 offen       // 000000007AA0: E05C1000 8083602B
	buffer_load_dwordx4 a[100:103], v43, s[12:15], 0 offen offset:1024// 000000007AA8: E05C1400 8083642B
	v_mfma_f32_16x16x128_f8f6f4 v[132:135], a[32:39], a[152:159], 0// 000000007AB0: D3AD0084 1A033120
	ds_write_b64 v4, v[192:193] offset:38400                   // 000000007AB8: D89A9600 0000C004
	ds_write_b64 v4, v[194:195] offset:47104                   // 000000007AC0: D89AB800 0000C204
	v_mfma_f32_16x16x128_f8f6f4 v[136:139], a[40:47], a[136:143], 0// 000000007AC8: D3AD0088 1A031128
	buffer_load_dwordx4 a[104:107], v44, s[12:15], 0 offen     // 000000007AD0: E05C1000 8083682C
	buffer_load_dwordx4 a[108:111], v44, s[12:15], 0 offen offset:1024// 000000007AD8: E05C1400 80836C2C
	v_mfma_f32_16x16x128_f8f6f4 v[140:143], a[40:47], a[152:159], 0// 000000007AE0: D3AD008C 1A033128
	ds_write_b64 v4, v[196:197] offset:40576                   // 000000007AE8: D89A9E80 0000C404
	ds_write_b64 v4, v[198:199] offset:49280                   // 000000007AF0: D89AC080 0000C604
	s_waitcnt vmcnt(29)                                        // 000000007AF8: BF8C4F7D
	v_mfma_f32_16x16x128_f8f6f4 v[144:147], a[48:55], a[136:143], 0// 000000007AFC: D3AD0090 1A031130
	buffer_load_dwordx4 a[112:115], v45, s[12:15], 0 offen     // 000000007B04: E05C1000 8083702D
	buffer_load_dwordx4 a[116:119], v45, s[12:15], 0 offen offset:1024// 000000007B0C: E05C1400 8083742D
	v_mfma_f32_16x16x128_f8f6f4 v[148:151], a[48:55], a[152:159], 0// 000000007B14: D3AD0094 1A033130
	ds_write_b64 v4, v[200:201] offset:42752                   // 000000007B1C: D89AA700 0000C804
	ds_write_b64 v4, v[202:203] offset:51456                   // 000000007B24: D89AC900 0000CA04
	v_mfma_f32_16x16x128_f8f6f4 v[152:155], a[56:63], a[136:143], 0// 000000007B2C: D3AD0098 1A031138
	buffer_load_dwordx4 a[120:123], v46, s[12:15], 0 offen     // 000000007B34: E05C1000 8083782E
	buffer_load_dwordx4 a[124:127], v46, s[12:15], 0 offen offset:1024// 000000007B3C: E05C1400 80837C2E
	v_mfma_f32_16x16x128_f8f6f4 v[156:159], a[56:63], a[152:159], 0// 000000007B44: D3AD009C 1A033138
	ds_write_b64 v4, v[204:205] offset:44928                   // 000000007B4C: D89AAF80 0000CC04
	ds_write_b64 v4, v[206:207] offset:53632                   // 000000007B54: D89AD180 0000CE04
	v_mul_f32_dpp v52, v29, v23 row_newbcast:2 row_mask:0xf bank_mask:0xf// 000000007B5C: 0A682EFA FF01521D
	v_mov_b32_e32 v53, v52                                     // 000000007B64: 7E6A0334
	v_pk_fma_f32 v[160:161], v[128:129], v[52:53], v[160:161]  // 000000007B68: D3B040A0 1E826980
	v_pk_fma_f32 v[162:163], v[130:131], v[52:53], v[162:163]  // 000000007B70: D3B040A2 1E8A6982
	v_pk_fma_f32 v[168:169], v[136:137], v[52:53], v[168:169]  // 000000007B78: D3B040A8 1EA26988
	v_pk_fma_f32 v[170:171], v[138:139], v[52:53], v[170:171]  // 000000007B80: D3B040AA 1EAA698A
	v_mul_f32_dpp v52, v29, v23 row_newbcast:3 row_mask:0xf bank_mask:0xf// 000000007B88: 0A682EFA FF01531D
	v_mov_b32_e32 v53, v52                                     // 000000007B90: 7E6A0334
	v_pk_fma_f32 v[176:177], v[144:145], v[52:53], v[176:177]  // 000000007B94: D3B040B0 1EC26990
	v_pk_fma_f32 v[178:179], v[146:147], v[52:53], v[178:179]  // 000000007B9C: D3B040B2 1ECA6992
	v_pk_fma_f32 v[184:185], v[152:153], v[52:53], v[184:185]  // 000000007BA4: D3B040B8 1EE26998
	v_pk_fma_f32 v[186:187], v[154:155], v[52:53], v[186:187]  // 000000007BAC: D3B040BA 1EEA699A
	v_mul_f32_dpp v52, v29, v24 row_newbcast:2 row_mask:0xf bank_mask:0xf// 000000007BB4: 0A6830FA FF01521D
	v_mov_b32_e32 v53, v52                                     // 000000007BBC: 7E6A0334
	v_pk_fma_f32 v[164:165], v[132:133], v[52:53], v[164:165]  // 000000007BC0: D3B040A4 1E926984
	v_pk_fma_f32 v[166:167], v[134:135], v[52:53], v[166:167]  // 000000007BC8: D3B040A6 1E9A6986
	v_pk_fma_f32 v[172:173], v[140:141], v[52:53], v[172:173]  // 000000007BD0: D3B040AC 1EB2698C
	v_pk_fma_f32 v[174:175], v[142:143], v[52:53], v[174:175]  // 000000007BD8: D3B040AE 1EBA698E
	v_mul_f32_dpp v52, v29, v24 row_newbcast:3 row_mask:0xf bank_mask:0xf// 000000007BE0: 0A6830FA FF01531D
	v_mov_b32_e32 v53, v52                                     // 000000007BE8: 7E6A0334
	v_pk_fma_f32 v[180:181], v[148:149], v[52:53], v[180:181]  // 000000007BEC: D3B040B4 1ED26994
	v_pk_fma_f32 v[182:183], v[150:151], v[52:53], v[182:183]  // 000000007BF4: D3B040B6 1EDA6996
	v_pk_fma_f32 v[188:189], v[156:157], v[52:53], v[188:189]  // 000000007BFC: D3B040BC 1EF2699C
	v_pk_fma_f32 v[190:191], v[158:159], v[52:53], v[190:191]  // 000000007C04: D3B040BE 1EFA699E
	s_add_u32 s56, 0x200, s76                                  // 000000007C0C: 80384CFF 00000200
	s_cmp_lt_u32 s56, s77                                      // 000000007C14: BF0A4D38
	s_cselect_b32 s52, s52, 0                                  // 000000007C18: 85348034
	s_cselect_b32 s74, s74, 0                                  // 000000007C1C: 854A804A
	s_cselect_b32 s75, s75, 0                                  // 000000007C20: 854B804B
	s_add_u32 s12, s52, s12                                    // 000000007C24: 800C0C34
	s_addc_u32 s13, 0, s13                                     // 000000007C28: 820D0D80
	s_add_u32 s16, s75, s16                                    // 000000007C2C: 8010104B
	s_addc_u32 s17, 0, s17                                     // 000000007C30: 82111180
	v_mov_b32_e32 v52, v31                                     // 000000007C34: 7E68031F
	v_mov_b32_e32 v53, v31                                     // 000000007C38: 7E6A031F
	v_pk_mul_f32 v[160:161], v[52:53], v[160:161]              // 000000007C3C: D3B140A0 18034134
	v_pk_mul_f32 v[162:163], v[52:53], v[162:163]              // 000000007C44: D3B140A2 18034534
	v_pk_mul_f32 v[168:169], v[52:53], v[168:169]              // 000000007C4C: D3B140A8 18035134
	v_pk_mul_f32 v[170:171], v[52:53], v[170:171]              // 000000007C54: D3B140AA 18035534
	v_pk_mul_f32 v[176:177], v[52:53], v[176:177]              // 000000007C5C: D3B140B0 18036134
	v_pk_mul_f32 v[178:179], v[52:53], v[178:179]              // 000000007C64: D3B140B2 18036534
	v_pk_mul_f32 v[184:185], v[52:53], v[184:185]              // 000000007C6C: D3B140B8 18037134
	v_pk_mul_f32 v[186:187], v[52:53], v[186:187]              // 000000007C74: D3B140BA 18037534
	v_mov_b32_e32 v52, v32                                     // 000000007C7C: 7E680320
	v_mov_b32_e32 v53, v32                                     // 000000007C80: 7E6A0320
	v_pk_mul_f32 v[164:165], v[52:53], v[164:165]              // 000000007C84: D3B140A4 18034934
	v_pk_mul_f32 v[166:167], v[52:53], v[166:167]              // 000000007C8C: D3B140A6 18034D34
	v_pk_mul_f32 v[172:173], v[52:53], v[172:173]              // 000000007C94: D3B140AC 18035934
	v_pk_mul_f32 v[174:175], v[52:53], v[174:175]              // 000000007C9C: D3B140AE 18035D34
	v_pk_mul_f32 v[180:181], v[52:53], v[180:181]              // 000000007CA4: D3B140B4 18036934
	v_pk_mul_f32 v[182:183], v[52:53], v[182:183]              // 000000007CAC: D3B140B6 18036D34
	v_pk_mul_f32 v[188:189], v[52:53], v[188:189]              // 000000007CB4: D3B140BC 18037934
	v_pk_mul_f32 v[190:191], v[52:53], v[190:191]              // 000000007CBC: D3B140BE 18037D34
	v_cvt_pk_bf16_f32 v160, v160, v161                         // 000000007CC4: D26800A0 000343A0
	v_cvt_pk_bf16_f32 v161, v162, v163                         // 000000007CCC: D26800A1 000347A2
	v_cvt_pk_bf16_f32 v162, v164, v165                         // 000000007CD4: D26800A2 00034BA4
	v_cvt_pk_bf16_f32 v163, v166, v167                         // 000000007CDC: D26800A3 00034FA6
	v_cvt_pk_bf16_f32 v164, v168, v169                         // 000000007CE4: D26800A4 000353A8
	v_cvt_pk_bf16_f32 v165, v170, v171                         // 000000007CEC: D26800A5 000357AA
	v_cvt_pk_bf16_f32 v166, v172, v173                         // 000000007CF4: D26800A6 00035BAC
	v_cvt_pk_bf16_f32 v167, v174, v175                         // 000000007CFC: D26800A7 00035FAE
	v_cvt_pk_bf16_f32 v168, v176, v177                         // 000000007D04: D26800A8 000363B0
	v_cvt_pk_bf16_f32 v169, v178, v179                         // 000000007D0C: D26800A9 000367B2
	v_cvt_pk_bf16_f32 v170, v180, v181                         // 000000007D14: D26800AA 00036BB4
	v_cvt_pk_bf16_f32 v171, v182, v183                         // 000000007D1C: D26800AB 00036FB6
	v_cvt_pk_bf16_f32 v172, v184, v185                         // 000000007D24: D26800AC 000373B8
	v_cvt_pk_bf16_f32 v173, v186, v187                         // 000000007D2C: D26800AD 000377BA
	v_cvt_pk_bf16_f32 v174, v188, v189                         // 000000007D34: D26800AE 00037BBC
	v_cvt_pk_bf16_f32 v175, v190, v191                         // 000000007D3C: D26800AF 00037FBE
	s_cmp_ge_u32 s76, 0x200                                    // 000000007D44: BF09FF4C 00000200
	s_cselect_b32 s55, 0x200, s55                              // 000000007D4C: 853737FF 00000200
	s_mov_b64 exec, s[20:21]                                   // 000000007D54: BEFE0114
	global_atomic_pk_add_bf16 v80, v64, s[8:9]                 // 000000007D58: DD488000 00084050
	s_mov_b64 exec, s[36:37]                                   // 000000007D60: BEFE0124
	s_mov_b64 exec, s[20:21]                                   // 000000007D64: BEFE0114
	global_atomic_pk_add_bf16 v80, v65, s[8:9] offset:256      // 000000007D68: DD488100 00084150
	s_mov_b64 exec, s[36:37]                                   // 000000007D70: BEFE0124
	s_mov_b64 exec, s[22:23]                                   // 000000007D74: BEFE0116
	global_atomic_pk_add_bf16 v82, v66, s[8:9]                 // 000000007D78: DD488000 00084252
	s_mov_b64 exec, s[36:37]                                   // 000000007D80: BEFE0124
	s_mov_b64 exec, s[22:23]                                   // 000000007D84: BEFE0116
	global_atomic_pk_add_bf16 v82, v67, s[8:9] offset:256      // 000000007D88: DD488100 00084352
	s_mov_b64 exec, s[36:37]                                   // 000000007D90: BEFE0124
	s_mov_b64 exec, s[24:25]                                   // 000000007D94: BEFE0118
	global_atomic_pk_add_bf16 v84, v68, s[8:9]                 // 000000007D98: DD488000 00084454
	s_mov_b64 exec, s[36:37]                                   // 000000007DA0: BEFE0124
	s_mov_b64 exec, s[24:25]                                   // 000000007DA4: BEFE0118
	global_atomic_pk_add_bf16 v84, v69, s[8:9] offset:256      // 000000007DA8: DD488100 00084554
	s_mov_b64 exec, s[36:37]                                   // 000000007DB0: BEFE0124
	s_mov_b64 exec, s[26:27]                                   // 000000007DB4: BEFE011A
	global_atomic_pk_add_bf16 v86, v70, s[8:9]                 // 000000007DB8: DD488000 00084656
	s_mov_b64 exec, s[36:37]                                   // 000000007DC0: BEFE0124
	s_mov_b64 exec, s[26:27]                                   // 000000007DC4: BEFE011A
	global_atomic_pk_add_bf16 v86, v71, s[8:9] offset:256      // 000000007DC8: DD488100 00084756
	s_mov_b64 exec, s[36:37]                                   // 000000007DD0: BEFE0124
	s_mov_b64 exec, s[28:29]                                   // 000000007DD4: BEFE011C
	global_atomic_pk_add_bf16 v88, v72, s[8:9]                 // 000000007DD8: DD488000 00084858
	s_mov_b64 exec, s[36:37]                                   // 000000007DE0: BEFE0124
	s_mov_b64 exec, s[28:29]                                   // 000000007DE4: BEFE011C
	global_atomic_pk_add_bf16 v88, v73, s[8:9] offset:256      // 000000007DE8: DD488100 00084958
	s_mov_b64 exec, s[36:37]                                   // 000000007DF0: BEFE0124
	s_mov_b64 exec, s[30:31]                                   // 000000007DF4: BEFE011E
	global_atomic_pk_add_bf16 v90, v74, s[8:9]                 // 000000007DF8: DD488000 00084A5A
	s_mov_b64 exec, s[36:37]                                   // 000000007E00: BEFE0124
	s_mov_b64 exec, s[30:31]                                   // 000000007E04: BEFE011E
	global_atomic_pk_add_bf16 v90, v75, s[8:9] offset:256      // 000000007E08: DD488100 00084B5A
	s_mov_b64 exec, s[36:37]                                   // 000000007E10: BEFE0124
	s_mov_b64 exec, s[32:33]                                   // 000000007E14: BEFE0120
	global_atomic_pk_add_bf16 v92, v76, s[8:9]                 // 000000007E18: DD488000 00084C5C
	s_mov_b64 exec, s[36:37]                                   // 000000007E20: BEFE0124
	s_mov_b64 exec, s[32:33]                                   // 000000007E24: BEFE0120
	global_atomic_pk_add_bf16 v92, v77, s[8:9] offset:256      // 000000007E28: DD488100 00084D5C
	s_mov_b64 exec, s[36:37]                                   // 000000007E30: BEFE0124
	s_mov_b64 exec, s[34:35]                                   // 000000007E34: BEFE0122
	global_atomic_pk_add_bf16 v94, v78, s[8:9]                 // 000000007E38: DD488000 00084E5E
	s_mov_b64 exec, s[36:37]                                   // 000000007E40: BEFE0124
	s_mov_b64 exec, s[34:35]                                   // 000000007E44: BEFE0122
	global_atomic_pk_add_bf16 v94, v79, s[8:9] offset:256      // 000000007E48: DD488100 00084F5E
	s_mov_b64 exec, s[36:37]                                   // 000000007E50: BEFE0124
	s_add_u32 s8, s55, s8                                      // 000000007E54: 80080837
	s_addc_u32 s9, 0, s9                                       // 000000007E58: 82090980
	s_addk_i32 s76, 0x100                                      // 000000007E5C: B74C0100
	s_cmp_lt_i32 s76, s77                                      // 000000007E60: BF044D4C
	s_cbranch_scc0 label_0C5E                                  // 000000007E64: BF84F844
	s_waitcnt vmcnt(28) lgkmcnt(0)                             // 000000007E68: BF8C407C
	s_barrier                                                  // 000000007E6C: BF8A0000
	v_mfma_f32_16x16x128_f8f6f4 v[192:195], a[64:71], a[128:135], 0// 000000007E70: D3AD00C0 1A030140
	buffer_load_dwordx4 a[0:3], v43, s[12:15], 0 offen         // 000000007E78: E05C1000 8083002B
	buffer_load_dwordx4 a[4:7], v43, s[12:15], 0 offen offset:1024// 000000007E80: E05C1400 8083042B
	v_mfma_f32_16x16x128_f8f6f4 v[196:199], a[64:71], a[144:151], 0// 000000007E88: D3AD00C4 1A032140
	ds_read_b32 v64, v6 offset:38400                           // 000000007E90: D86C9600 40000006
	ds_read_b32 v65, v6 offset:42752                           // 000000007E98: D86CA700 41000006
	ds_read_b32 v66, v6 offset:38408                           // 000000007EA0: D86C9608 42000006
	ds_read_b32 v67, v6 offset:42760                           // 000000007EA8: D86CA708 43000006
	v_mfma_f32_16x16x128_f8f6f4 v[200:203], a[72:79], a[128:135], 0// 000000007EB0: D3AD00C8 1A030148
	buffer_load_dwordx4 a[8:11], v44, s[12:15], 0 offen        // 000000007EB8: E05C1000 8083082C
	buffer_load_dwordx4 a[12:15], v44, s[12:15], 0 offen offset:1024// 000000007EC0: E05C1400 80830C2C
	buffer_load_dword v29, v8, s[16:19], 0 offen               // 000000007EC8: E0501000 80041D08
	v_mfma_f32_16x16x128_f8f6f4 v[204:207], a[72:79], a[144:151], 0// 000000007ED0: D3AD00CC 1A032148
	ds_read_b32 v68, v6 offset:38432                           // 000000007ED8: D86C9620 44000006
	ds_read_b32 v69, v6 offset:42784                           // 000000007EE0: D86CA720 45000006
	ds_read_b32 v70, v6 offset:38440                           // 000000007EE8: D86C9628 46000006
	ds_read_b32 v71, v6 offset:42792                           // 000000007EF0: D86CA728 47000006
	s_waitcnt vmcnt(29)                                        // 000000007EF8: BF8C4F7D
	v_mfma_f32_16x16x128_f8f6f4 v[208:211], a[80:87], a[128:135], 0// 000000007EFC: D3AD00D0 1A030150
	buffer_load_dwordx4 a[16:19], v45, s[12:15], 0 offen       // 000000007F04: E05C1000 8083102D
	buffer_load_dwordx4 a[20:23], v45, s[12:15], 0 offen offset:1024// 000000007F0C: E05C1400 8083142D
	v_mfma_f32_16x16x128_f8f6f4 v[212:215], a[80:87], a[144:151], 0// 000000007F14: D3AD00D4 1A032150
	ds_read_b32 v72, v6 offset:47104                           // 000000007F1C: D86CB800 48000006
	ds_read_b32 v73, v6 offset:51456                           // 000000007F24: D86CC900 49000006
	ds_read_b32 v74, v6 offset:47112                           // 000000007F2C: D86CB808 4A000006
	ds_read_b32 v75, v6 offset:51464                           // 000000007F34: D86CC908 4B000006
	v_mfma_f32_16x16x128_f8f6f4 v[216:219], a[88:95], a[128:135], 0// 000000007F3C: D3AD00D8 1A030158
	buffer_load_dwordx4 a[24:27], v46, s[12:15], 0 offen       // 000000007F44: E05C1000 8083182E
	buffer_load_dwordx4 a[28:31], v46, s[12:15], 0 offen offset:1024// 000000007F4C: E05C1400 80831C2E
	s_add_u32 s12, s74, s12                                    // 000000007F54: 800C0C4A
	s_addc_u32 s13, 0, s13                                     // 000000007F58: 820D0D80
	v_mfma_f32_16x16x128_f8f6f4 v[220:223], a[88:95], a[144:151], 0// 000000007F5C: D3AD00DC 1A032158
	ds_read_b32 v76, v6 offset:47136                           // 000000007F64: D86CB820 4C000006
	ds_read_b32 v77, v6 offset:51488                           // 000000007F6C: D86CC920 4D000006
	ds_read_b32 v78, v6 offset:47144                           // 000000007F74: D86CB828 4E000006
	ds_read_b32 v79, v6 offset:51496                           // 000000007F7C: D86CC928 4F000006
	v_mul_f32_dpp v52, v30, v21 row_newbcast:0 row_mask:0xf bank_mask:0xf// 000000007F84: 0A682AFA FF01501E
	v_mov_b32_e32 v53, v52                                     // 000000007F8C: 7E6A0334
	v_pk_mul_f32 v[192:193], v[52:53], v[192:193]              // 000000007F90: D3B140C0 18038134
	v_pk_mul_f32 v[194:195], v[52:53], v[194:195]              // 000000007F98: D3B140C2 18038534
	v_pk_mul_f32 v[200:201], v[52:53], v[200:201]              // 000000007FA0: D3B140C8 18039134
	v_pk_mul_f32 v[202:203], v[52:53], v[202:203]              // 000000007FA8: D3B140CA 18039534
	v_mul_f32_dpp v52, v30, v21 row_newbcast:1 row_mask:0xf bank_mask:0xf// 000000007FB0: 0A682AFA FF01511E
	v_mov_b32_e32 v53, v52                                     // 000000007FB8: 7E6A0334
	v_pk_mul_f32 v[208:209], v[52:53], v[208:209]              // 000000007FBC: D3B140D0 1803A134
	v_pk_mul_f32 v[210:211], v[52:53], v[210:211]              // 000000007FC4: D3B140D2 1803A534
	v_pk_mul_f32 v[216:217], v[52:53], v[216:217]              // 000000007FCC: D3B140D8 1803B134
	v_pk_mul_f32 v[218:219], v[52:53], v[218:219]              // 000000007FD4: D3B140DA 1803B534
	v_mul_f32_dpp v52, v30, v22 row_newbcast:0 row_mask:0xf bank_mask:0xf// 000000007FDC: 0A682CFA FF01501E
	v_mov_b32_e32 v53, v52                                     // 000000007FE4: 7E6A0334
	v_pk_mul_f32 v[196:197], v[52:53], v[196:197]              // 000000007FE8: D3B140C4 18038934
	v_pk_mul_f32 v[198:199], v[52:53], v[198:199]              // 000000007FF0: D3B140C6 18038D34
	v_pk_mul_f32 v[204:205], v[52:53], v[204:205]              // 000000007FF8: D3B140CC 18039934
	v_pk_mul_f32 v[206:207], v[52:53], v[206:207]              // 000000008000: D3B140CE 18039D34
	v_mul_f32_dpp v52, v30, v22 row_newbcast:1 row_mask:0xf bank_mask:0xf// 000000008008: 0A682CFA FF01511E
	v_mov_b32_e32 v53, v52                                     // 000000008010: 7E6A0334
	v_pk_mul_f32 v[212:213], v[52:53], v[212:213]              // 000000008014: D3B140D4 1803A934
	v_pk_mul_f32 v[214:215], v[52:53], v[214:215]              // 00000000801C: D3B140D6 1803AD34
	v_pk_mul_f32 v[220:221], v[52:53], v[220:221]              // 000000008024: D3B140DC 1803B934
	v_pk_mul_f32 v[222:223], v[52:53], v[222:223]              // 00000000802C: D3B140DE 1803BD34
	s_waitcnt vmcnt(29)                                        // 000000008034: BF8C4F7D
	v_mfma_f32_16x16x128_f8f6f4 v[128:131], a[96:103], a[136:143], 0// 000000008038: D3AD0080 1A031160
	buffer_load_dwordx4 a[32:35], v43, s[12:15], 0 offen       // 000000008040: E05C1000 8083202B
	buffer_load_dwordx4 a[36:39], v43, s[12:15], 0 offen offset:1024// 000000008048: E05C1400 8083242B
	v_mfma_f32_16x16x128_f8f6f4 v[132:135], a[96:103], a[152:159], 0// 000000008050: D3AD0084 1A033160
	ds_write_b64 v4, v[160:161] offset:20992                   // 000000008058: D89A5200 0000A004
	ds_write_b64 v4, v[162:163] offset:29696                   // 000000008060: D89A7400 0000A204
	v_mfma_f32_16x16x128_f8f6f4 v[136:139], a[104:111], a[136:143], 0// 000000008068: D3AD0088 1A031168
	buffer_load_dwordx4 a[40:43], v44, s[12:15], 0 offen       // 000000008070: E05C1000 8083282C
	buffer_load_dwordx4 a[44:47], v44, s[12:15], 0 offen offset:1024// 000000008078: E05C1400 80832C2C
	v_mfma_f32_16x16x128_f8f6f4 v[140:143], a[104:111], a[152:159], 0// 000000008080: D3AD008C 1A033168
	ds_write_b64 v4, v[164:165] offset:23168                   // 000000008088: D89A5A80 0000A404
	ds_write_b64 v4, v[166:167] offset:31872                   // 000000008090: D89A7C80 0000A604
	s_waitcnt vmcnt(29)                                        // 000000008098: BF8C4F7D
	v_mfma_f32_16x16x128_f8f6f4 v[144:147], a[112:119], a[136:143], 0// 00000000809C: D3AD0090 1A031170
	buffer_load_dwordx4 a[48:51], v45, s[12:15], 0 offen       // 0000000080A4: E05C1000 8083302D
	buffer_load_dwordx4 a[52:55], v45, s[12:15], 0 offen offset:1024// 0000000080AC: E05C1400 8083342D
	v_mfma_f32_16x16x128_f8f6f4 v[148:151], a[112:119], a[152:159], 0// 0000000080B4: D3AD0094 1A033170
	ds_write_b64 v4, v[168:169] offset:25344                   // 0000000080BC: D89A6300 0000A804
	ds_write_b64 v4, v[170:171] offset:34048                   // 0000000080C4: D89A8500 0000AA04
	v_mfma_f32_16x16x128_f8f6f4 v[152:155], a[120:127], a[136:143], 0// 0000000080CC: D3AD0098 1A031178
	buffer_load_dwordx4 a[56:59], v46, s[12:15], 0 offen       // 0000000080D4: E05C1000 8083382E
	buffer_load_dwordx4 a[60:63], v46, s[12:15], 0 offen offset:1024// 0000000080DC: E05C1400 80833C2E
	v_mfma_f32_16x16x128_f8f6f4 v[156:159], a[120:127], a[152:159], 0// 0000000080E4: D3AD009C 1A033178
	ds_write_b64 v4, v[172:173] offset:27520                   // 0000000080EC: D89A6B80 0000AC04
	ds_write_b64 v4, v[174:175] offset:36224                   // 0000000080F4: D89A8D80 0000AE04
	v_mul_f32_dpp v52, v30, v23 row_newbcast:2 row_mask:0xf bank_mask:0xf// 0000000080FC: 0A682EFA FF01521E
	v_mov_b32_e32 v53, v52                                     // 000000008104: 7E6A0334
	v_pk_fma_f32 v[192:193], v[128:129], v[52:53], v[192:193]  // 000000008108: D3B040C0 1F026980
	v_pk_fma_f32 v[194:195], v[130:131], v[52:53], v[194:195]  // 000000008110: D3B040C2 1F0A6982
	v_pk_fma_f32 v[200:201], v[136:137], v[52:53], v[200:201]  // 000000008118: D3B040C8 1F226988
	v_pk_fma_f32 v[202:203], v[138:139], v[52:53], v[202:203]  // 000000008120: D3B040CA 1F2A698A
	v_mul_f32_dpp v52, v30, v23 row_newbcast:3 row_mask:0xf bank_mask:0xf// 000000008128: 0A682EFA FF01531E
	v_mov_b32_e32 v53, v52                                     // 000000008130: 7E6A0334
	v_pk_fma_f32 v[208:209], v[144:145], v[52:53], v[208:209]  // 000000008134: D3B040D0 1F426990
	v_pk_fma_f32 v[210:211], v[146:147], v[52:53], v[210:211]  // 00000000813C: D3B040D2 1F4A6992
	v_pk_fma_f32 v[216:217], v[152:153], v[52:53], v[216:217]  // 000000008144: D3B040D8 1F626998
	v_pk_fma_f32 v[218:219], v[154:155], v[52:53], v[218:219]  // 00000000814C: D3B040DA 1F6A699A
	v_mul_f32_dpp v52, v30, v24 row_newbcast:2 row_mask:0xf bank_mask:0xf// 000000008154: 0A6830FA FF01521E
	v_mov_b32_e32 v53, v52                                     // 00000000815C: 7E6A0334
	v_pk_fma_f32 v[196:197], v[132:133], v[52:53], v[196:197]  // 000000008160: D3B040C4 1F126984
	v_pk_fma_f32 v[198:199], v[134:135], v[52:53], v[198:199]  // 000000008168: D3B040C6 1F1A6986
	v_pk_fma_f32 v[204:205], v[140:141], v[52:53], v[204:205]  // 000000008170: D3B040CC 1F32698C
	v_pk_fma_f32 v[206:207], v[142:143], v[52:53], v[206:207]  // 000000008178: D3B040CE 1F3A698E
	v_mul_f32_dpp v52, v30, v24 row_newbcast:3 row_mask:0xf bank_mask:0xf// 000000008180: 0A6830FA FF01531E
	v_mov_b32_e32 v53, v52                                     // 000000008188: 7E6A0334
	v_pk_fma_f32 v[212:213], v[148:149], v[52:53], v[212:213]  // 00000000818C: D3B040D4 1F526994
	v_pk_fma_f32 v[214:215], v[150:151], v[52:53], v[214:215]  // 000000008194: D3B040D6 1F5A6996
	v_pk_fma_f32 v[220:221], v[156:157], v[52:53], v[220:221]  // 00000000819C: D3B040DC 1F72699C
	v_pk_fma_f32 v[222:223], v[158:159], v[52:53], v[222:223]  // 0000000081A4: D3B040DE 1F7A699E
	s_add_u32 s56, 0x200, s76                                  // 0000000081AC: 80384CFF 00000200
	s_cmp_lt_u32 s56, s77                                      // 0000000081B4: BF0A4D38
	s_cselect_b32 s52, s52, 0                                  // 0000000081B8: 85348034
	s_cselect_b32 s74, s74, 0                                  // 0000000081BC: 854A804A
	s_cselect_b32 s75, s75, 0                                  // 0000000081C0: 854B804B
	s_add_u32 s12, s52, s12                                    // 0000000081C4: 800C0C34
	s_addc_u32 s13, 0, s13                                     // 0000000081C8: 820D0D80
	s_add_u32 s16, s75, s16                                    // 0000000081CC: 8010104B
	s_addc_u32 s17, 0, s17                                     // 0000000081D0: 82111180
	v_mov_b32_e32 v52, v31                                     // 0000000081D4: 7E68031F
	v_mov_b32_e32 v53, v31                                     // 0000000081D8: 7E6A031F
	v_pk_mul_f32 v[192:193], v[52:53], v[192:193]              // 0000000081DC: D3B140C0 18038134
	v_pk_mul_f32 v[194:195], v[52:53], v[194:195]              // 0000000081E4: D3B140C2 18038534
	v_pk_mul_f32 v[200:201], v[52:53], v[200:201]              // 0000000081EC: D3B140C8 18039134
	v_pk_mul_f32 v[202:203], v[52:53], v[202:203]              // 0000000081F4: D3B140CA 18039534
	v_pk_mul_f32 v[208:209], v[52:53], v[208:209]              // 0000000081FC: D3B140D0 1803A134
	v_pk_mul_f32 v[210:211], v[52:53], v[210:211]              // 000000008204: D3B140D2 1803A534
	v_pk_mul_f32 v[216:217], v[52:53], v[216:217]              // 00000000820C: D3B140D8 1803B134
	v_pk_mul_f32 v[218:219], v[52:53], v[218:219]              // 000000008214: D3B140DA 1803B534
	v_mov_b32_e32 v52, v32                                     // 00000000821C: 7E680320
	v_mov_b32_e32 v53, v32                                     // 000000008220: 7E6A0320
	v_pk_mul_f32 v[196:197], v[52:53], v[196:197]              // 000000008224: D3B140C4 18038934
	v_pk_mul_f32 v[198:199], v[52:53], v[198:199]              // 00000000822C: D3B140C6 18038D34
	v_pk_mul_f32 v[204:205], v[52:53], v[204:205]              // 000000008234: D3B140CC 18039934
	v_pk_mul_f32 v[206:207], v[52:53], v[206:207]              // 00000000823C: D3B140CE 18039D34
	v_pk_mul_f32 v[212:213], v[52:53], v[212:213]              // 000000008244: D3B140D4 1803A934
	v_pk_mul_f32 v[214:215], v[52:53], v[214:215]              // 00000000824C: D3B140D6 1803AD34
	v_pk_mul_f32 v[220:221], v[52:53], v[220:221]              // 000000008254: D3B140DC 1803B934
	v_pk_mul_f32 v[222:223], v[52:53], v[222:223]              // 00000000825C: D3B140DE 1803BD34
	v_cvt_pk_bf16_f32 v192, v192, v193                         // 000000008264: D26800C0 000383C0
	v_cvt_pk_bf16_f32 v193, v194, v195                         // 00000000826C: D26800C1 000387C2
	v_cvt_pk_bf16_f32 v194, v196, v197                         // 000000008274: D26800C2 00038BC4
	v_cvt_pk_bf16_f32 v195, v198, v199                         // 00000000827C: D26800C3 00038FC6
	v_cvt_pk_bf16_f32 v196, v200, v201                         // 000000008284: D26800C4 000393C8
	v_cvt_pk_bf16_f32 v197, v202, v203                         // 00000000828C: D26800C5 000397CA
	v_cvt_pk_bf16_f32 v198, v204, v205                         // 000000008294: D26800C6 00039BCC
	v_cvt_pk_bf16_f32 v199, v206, v207                         // 00000000829C: D26800C7 00039FCE
	v_cvt_pk_bf16_f32 v200, v208, v209                         // 0000000082A4: D26800C8 0003A3D0
	v_cvt_pk_bf16_f32 v201, v210, v211                         // 0000000082AC: D26800C9 0003A7D2
	v_cvt_pk_bf16_f32 v202, v212, v213                         // 0000000082B4: D26800CA 0003ABD4
	v_cvt_pk_bf16_f32 v203, v214, v215                         // 0000000082BC: D26800CB 0003AFD6
	v_cvt_pk_bf16_f32 v204, v216, v217                         // 0000000082C4: D26800CC 0003B3D8
	v_cvt_pk_bf16_f32 v205, v218, v219                         // 0000000082CC: D26800CD 0003B7DA
	v_cvt_pk_bf16_f32 v206, v220, v221                         // 0000000082D4: D26800CE 0003BBDC
	v_cvt_pk_bf16_f32 v207, v222, v223                         // 0000000082DC: D26800CF 0003BFDE
	s_cmp_ge_u32 s76, 0x200                                    // 0000000082E4: BF09FF4C 00000200
	s_cselect_b32 s55, 0x200, s55                              // 0000000082EC: 853737FF 00000200
	s_mov_b64 exec, s[20:21]                                   // 0000000082F4: BEFE0114
	global_atomic_pk_add_bf16 v80, v64, s[8:9]                 // 0000000082F8: DD488000 00084050
	s_mov_b64 exec, s[36:37]                                   // 000000008300: BEFE0124
	s_mov_b64 exec, s[20:21]                                   // 000000008304: BEFE0114
	global_atomic_pk_add_bf16 v80, v65, s[8:9] offset:256      // 000000008308: DD488100 00084150
	s_mov_b64 exec, s[36:37]                                   // 000000008310: BEFE0124
	s_mov_b64 exec, s[22:23]                                   // 000000008314: BEFE0116
	global_atomic_pk_add_bf16 v82, v66, s[8:9]                 // 000000008318: DD488000 00084252
	s_mov_b64 exec, s[36:37]                                   // 000000008320: BEFE0124
	s_mov_b64 exec, s[22:23]                                   // 000000008324: BEFE0116
	global_atomic_pk_add_bf16 v82, v67, s[8:9] offset:256      // 000000008328: DD488100 00084352
	s_mov_b64 exec, s[36:37]                                   // 000000008330: BEFE0124
	s_mov_b64 exec, s[24:25]                                   // 000000008334: BEFE0118
	global_atomic_pk_add_bf16 v84, v68, s[8:9]                 // 000000008338: DD488000 00084454
	s_mov_b64 exec, s[36:37]                                   // 000000008340: BEFE0124
	s_mov_b64 exec, s[24:25]                                   // 000000008344: BEFE0118
	global_atomic_pk_add_bf16 v84, v69, s[8:9] offset:256      // 000000008348: DD488100 00084554
	s_mov_b64 exec, s[36:37]                                   // 000000008350: BEFE0124
	s_mov_b64 exec, s[26:27]                                   // 000000008354: BEFE011A
	global_atomic_pk_add_bf16 v86, v70, s[8:9]                 // 000000008358: DD488000 00084656
	s_mov_b64 exec, s[36:37]                                   // 000000008360: BEFE0124
	s_mov_b64 exec, s[26:27]                                   // 000000008364: BEFE011A
	global_atomic_pk_add_bf16 v86, v71, s[8:9] offset:256      // 000000008368: DD488100 00084756
	s_mov_b64 exec, s[36:37]                                   // 000000008370: BEFE0124
	s_mov_b64 exec, s[28:29]                                   // 000000008374: BEFE011C
	global_atomic_pk_add_bf16 v88, v72, s[8:9]                 // 000000008378: DD488000 00084858
	s_mov_b64 exec, s[36:37]                                   // 000000008380: BEFE0124
	s_mov_b64 exec, s[28:29]                                   // 000000008384: BEFE011C
	global_atomic_pk_add_bf16 v88, v73, s[8:9] offset:256      // 000000008388: DD488100 00084958
	s_mov_b64 exec, s[36:37]                                   // 000000008390: BEFE0124
	s_mov_b64 exec, s[30:31]                                   // 000000008394: BEFE011E
	global_atomic_pk_add_bf16 v90, v74, s[8:9]                 // 000000008398: DD488000 00084A5A
	s_mov_b64 exec, s[36:37]                                   // 0000000083A0: BEFE0124
	s_mov_b64 exec, s[30:31]                                   // 0000000083A4: BEFE011E
	global_atomic_pk_add_bf16 v90, v75, s[8:9] offset:256      // 0000000083A8: DD488100 00084B5A
	s_mov_b64 exec, s[36:37]                                   // 0000000083B0: BEFE0124
	s_mov_b64 exec, s[32:33]                                   // 0000000083B4: BEFE0120
	global_atomic_pk_add_bf16 v92, v76, s[8:9]                 // 0000000083B8: DD488000 00084C5C
	s_mov_b64 exec, s[36:37]                                   // 0000000083C0: BEFE0124
	s_mov_b64 exec, s[32:33]                                   // 0000000083C4: BEFE0120
	global_atomic_pk_add_bf16 v92, v77, s[8:9] offset:256      // 0000000083C8: DD488100 00084D5C
	s_mov_b64 exec, s[36:37]                                   // 0000000083D0: BEFE0124
	s_mov_b64 exec, s[34:35]                                   // 0000000083D4: BEFE0122
	global_atomic_pk_add_bf16 v94, v78, s[8:9]                 // 0000000083D8: DD488000 00084E5E
	s_mov_b64 exec, s[36:37]                                   // 0000000083E0: BEFE0124
	s_mov_b64 exec, s[34:35]                                   // 0000000083E4: BEFE0122
	global_atomic_pk_add_bf16 v94, v79, s[8:9] offset:256      // 0000000083E8: DD488100 00084F5E
	s_mov_b64 exec, s[36:37]                                   // 0000000083F0: BEFE0124
	s_add_u32 s8, s55, s8                                      // 0000000083F4: 80080837
	s_addc_u32 s9, 0, s9                                       // 0000000083F8: 82090980
	s_addk_i32 s76, 0x100                                      // 0000000083FC: B74C0100
	s_cmp_lt_i32 s76, s77                                      // 000000008400: BF044D4C
	s_cbranch_scc0 label_0C5E                                  // 000000008404: BF84F6DC
	s_branch label_12B2                                        // 000000008408: BF82FD2F

000000000000840c <label_1583>:
	s_cmp_ge_u32 s55, 0                                        // 00000000840C: BF098037
	s_cselect_b32 s55, 0x200, s55                              // 000000008410: 853737FF 00000200
	s_waitcnt lgkmcnt(0)                                       // 000000008418: BF8CC07F
	s_barrier                                                  // 00000000841C: BF8A0000
	s_cmp_eq_u32 s60, 0x100                                    // 000000008420: BF06FF3C 00000100
	s_cbranch_scc0 label_15FF                                  // 000000008428: BF840074
	ds_write_b64 v4, v[160:161] offset:20992                   // 00000000842C: D89A5200 0000A004
	ds_write_b64 v4, v[162:163] offset:29696                   // 000000008434: D89A7400 0000A204
	ds_write_b64 v4, v[164:165] offset:23168                   // 00000000843C: D89A5A80 0000A404
	ds_write_b64 v4, v[166:167] offset:31872                   // 000000008444: D89A7C80 0000A604
	ds_write_b64 v4, v[168:169] offset:25344                   // 00000000844C: D89A6300 0000A804
	ds_write_b64 v4, v[170:171] offset:34048                   // 000000008454: D89A8500 0000AA04
	ds_write_b64 v4, v[172:173] offset:27520                   // 00000000845C: D89A6B80 0000AC04
	ds_write_b64 v4, v[174:175] offset:36224                   // 000000008464: D89A8D80 0000AE04
	s_waitcnt lgkmcnt(0)                                       // 00000000846C: BF8CC07F
	s_barrier                                                  // 000000008470: BF8A0000
	ds_read_b32 v64, v6 offset:20992                           // 000000008474: D86C5200 40000006
	ds_read_b32 v65, v6 offset:25344                           // 00000000847C: D86C6300 41000006
	ds_read_b32 v66, v6 offset:21000                           // 000000008484: D86C5208 42000006
	ds_read_b32 v67, v6 offset:25352                           // 00000000848C: D86C6308 43000006
	ds_read_b32 v68, v6 offset:21024                           // 000000008494: D86C5220 44000006
	ds_read_b32 v69, v6 offset:25376                           // 00000000849C: D86C6320 45000006
	ds_read_b32 v70, v6 offset:21032                           // 0000000084A4: D86C5228 46000006
	ds_read_b32 v71, v6 offset:25384                           // 0000000084AC: D86C6328 47000006
	ds_read_b32 v72, v6 offset:29696                           // 0000000084B4: D86C7400 48000006
	ds_read_b32 v73, v6 offset:34048                           // 0000000084BC: D86C8500 49000006
	ds_read_b32 v74, v6 offset:29704                           // 0000000084C4: D86C7408 4A000006
	ds_read_b32 v75, v6 offset:34056                           // 0000000084CC: D86C8508 4B000006
	ds_read_b32 v76, v6 offset:29728                           // 0000000084D4: D86C7420 4C000006
	ds_read_b32 v77, v6 offset:34080                           // 0000000084DC: D86C8520 4D000006
	ds_read_b32 v78, v6 offset:29736                           // 0000000084E4: D86C7428 4E000006
	ds_read_b32 v79, v6 offset:34088                           // 0000000084EC: D86C8528 4F000006
	s_waitcnt lgkmcnt(0)                                       // 0000000084F4: BF8CC07F
	s_mov_b64 exec, s[20:21]                                   // 0000000084F8: BEFE0114
	global_atomic_pk_add_bf16 v80, v64, s[8:9]                 // 0000000084FC: DD488000 00084050
	s_mov_b64 exec, s[36:37]                                   // 000000008504: BEFE0124
	s_mov_b64 exec, s[20:21]                                   // 000000008508: BEFE0114
	global_atomic_pk_add_bf16 v80, v65, s[8:9] offset:256      // 00000000850C: DD488100 00084150
	s_mov_b64 exec, s[36:37]                                   // 000000008514: BEFE0124
	s_mov_b64 exec, s[22:23]                                   // 000000008518: BEFE0116
	global_atomic_pk_add_bf16 v82, v66, s[8:9]                 // 00000000851C: DD488000 00084252
	s_mov_b64 exec, s[36:37]                                   // 000000008524: BEFE0124
	s_mov_b64 exec, s[22:23]                                   // 000000008528: BEFE0116
	global_atomic_pk_add_bf16 v82, v67, s[8:9] offset:256      // 00000000852C: DD488100 00084352
	s_mov_b64 exec, s[36:37]                                   // 000000008534: BEFE0124
	s_mov_b64 exec, s[24:25]                                   // 000000008538: BEFE0118
	global_atomic_pk_add_bf16 v84, v68, s[8:9]                 // 00000000853C: DD488000 00084454
	s_mov_b64 exec, s[36:37]                                   // 000000008544: BEFE0124
	s_mov_b64 exec, s[24:25]                                   // 000000008548: BEFE0118
	global_atomic_pk_add_bf16 v84, v69, s[8:9] offset:256      // 00000000854C: DD488100 00084554
	s_mov_b64 exec, s[36:37]                                   // 000000008554: BEFE0124
	s_mov_b64 exec, s[26:27]                                   // 000000008558: BEFE011A
	global_atomic_pk_add_bf16 v86, v70, s[8:9]                 // 00000000855C: DD488000 00084656
	s_mov_b64 exec, s[36:37]                                   // 000000008564: BEFE0124
	s_mov_b64 exec, s[26:27]                                   // 000000008568: BEFE011A
	global_atomic_pk_add_bf16 v86, v71, s[8:9] offset:256      // 00000000856C: DD488100 00084756
	s_mov_b64 exec, s[36:37]                                   // 000000008574: BEFE0124
	s_mov_b64 exec, s[28:29]                                   // 000000008578: BEFE011C
	global_atomic_pk_add_bf16 v88, v72, s[8:9]                 // 00000000857C: DD488000 00084858
	s_mov_b64 exec, s[36:37]                                   // 000000008584: BEFE0124
	s_mov_b64 exec, s[28:29]                                   // 000000008588: BEFE011C
	global_atomic_pk_add_bf16 v88, v73, s[8:9] offset:256      // 00000000858C: DD488100 00084958
	s_mov_b64 exec, s[36:37]                                   // 000000008594: BEFE0124
	s_mov_b64 exec, s[30:31]                                   // 000000008598: BEFE011E
	global_atomic_pk_add_bf16 v90, v74, s[8:9]                 // 00000000859C: DD488000 00084A5A
	s_mov_b64 exec, s[36:37]                                   // 0000000085A4: BEFE0124
	s_mov_b64 exec, s[30:31]                                   // 0000000085A8: BEFE011E
	global_atomic_pk_add_bf16 v90, v75, s[8:9] offset:256      // 0000000085AC: DD488100 00084B5A
	s_mov_b64 exec, s[36:37]                                   // 0000000085B4: BEFE0124
	s_mov_b64 exec, s[32:33]                                   // 0000000085B8: BEFE0120
	global_atomic_pk_add_bf16 v92, v76, s[8:9]                 // 0000000085BC: DD488000 00084C5C
	s_mov_b64 exec, s[36:37]                                   // 0000000085C4: BEFE0124
	s_mov_b64 exec, s[32:33]                                   // 0000000085C8: BEFE0120
	global_atomic_pk_add_bf16 v92, v77, s[8:9] offset:256      // 0000000085CC: DD488100 00084D5C
	s_mov_b64 exec, s[36:37]                                   // 0000000085D4: BEFE0124
	s_mov_b64 exec, s[34:35]                                   // 0000000085D8: BEFE0122
	global_atomic_pk_add_bf16 v94, v78, s[8:9]                 // 0000000085DC: DD488000 00084E5E
	s_mov_b64 exec, s[36:37]                                   // 0000000085E4: BEFE0124
	s_mov_b64 exec, s[34:35]                                   // 0000000085E8: BEFE0122
	global_atomic_pk_add_bf16 v94, v79, s[8:9] offset:256      // 0000000085EC: DD488100 00084F5E
	s_mov_b64 exec, s[36:37]                                   // 0000000085F4: BEFE0124
	s_branch label_16D5                                        // 0000000085F8: BF8200D6

00000000000085fc <label_15FF>:
	ds_read_b32 v64, v6 offset:20992                           // 0000000085FC: D86C5200 40000006
	ds_read_b32 v65, v6 offset:25344                           // 000000008604: D86C6300 41000006
	ds_read_b32 v66, v6 offset:21000                           // 00000000860C: D86C5208 42000006
	ds_read_b32 v67, v6 offset:25352                           // 000000008614: D86C6308 43000006
	ds_read_b32 v68, v6 offset:21024                           // 00000000861C: D86C5220 44000006
	ds_read_b32 v69, v6 offset:25376                           // 000000008624: D86C6320 45000006
	ds_read_b32 v70, v6 offset:21032                           // 00000000862C: D86C5228 46000006
	ds_read_b32 v71, v6 offset:25384                           // 000000008634: D86C6328 47000006
	ds_read_b32 v72, v6 offset:29696                           // 00000000863C: D86C7400 48000006
	ds_read_b32 v73, v6 offset:34048                           // 000000008644: D86C8500 49000006
	ds_read_b32 v74, v6 offset:29704                           // 00000000864C: D86C7408 4A000006
	ds_read_b32 v75, v6 offset:34056                           // 000000008654: D86C8508 4B000006
	ds_read_b32 v76, v6 offset:29728                           // 00000000865C: D86C7420 4C000006
	ds_read_b32 v77, v6 offset:34080                           // 000000008664: D86C8520 4D000006
	ds_read_b32 v78, v6 offset:29736                           // 00000000866C: D86C7428 4E000006
	ds_read_b32 v79, v6 offset:34088                           // 000000008674: D86C8528 4F000006
	s_waitcnt lgkmcnt(0)                                       // 00000000867C: BF8CC07F
	s_mov_b64 exec, s[20:21]                                   // 000000008680: BEFE0114
	global_atomic_pk_add_bf16 v80, v64, s[8:9]                 // 000000008684: DD488000 00084050
	s_mov_b64 exec, s[36:37]                                   // 00000000868C: BEFE0124
	s_mov_b64 exec, s[20:21]                                   // 000000008690: BEFE0114
	global_atomic_pk_add_bf16 v80, v65, s[8:9] offset:256      // 000000008694: DD488100 00084150
	s_mov_b64 exec, s[36:37]                                   // 00000000869C: BEFE0124
	s_mov_b64 exec, s[22:23]                                   // 0000000086A0: BEFE0116
	global_atomic_pk_add_bf16 v82, v66, s[8:9]                 // 0000000086A4: DD488000 00084252
	s_mov_b64 exec, s[36:37]                                   // 0000000086AC: BEFE0124
	s_mov_b64 exec, s[22:23]                                   // 0000000086B0: BEFE0116
	global_atomic_pk_add_bf16 v82, v67, s[8:9] offset:256      // 0000000086B4: DD488100 00084352
	s_mov_b64 exec, s[36:37]                                   // 0000000086BC: BEFE0124
	s_mov_b64 exec, s[24:25]                                   // 0000000086C0: BEFE0118
	global_atomic_pk_add_bf16 v84, v68, s[8:9]                 // 0000000086C4: DD488000 00084454
	s_mov_b64 exec, s[36:37]                                   // 0000000086CC: BEFE0124
	s_mov_b64 exec, s[24:25]                                   // 0000000086D0: BEFE0118
	global_atomic_pk_add_bf16 v84, v69, s[8:9] offset:256      // 0000000086D4: DD488100 00084554
	s_mov_b64 exec, s[36:37]                                   // 0000000086DC: BEFE0124
	s_mov_b64 exec, s[26:27]                                   // 0000000086E0: BEFE011A
	global_atomic_pk_add_bf16 v86, v70, s[8:9]                 // 0000000086E4: DD488000 00084656
	s_mov_b64 exec, s[36:37]                                   // 0000000086EC: BEFE0124
	s_mov_b64 exec, s[26:27]                                   // 0000000086F0: BEFE011A
	global_atomic_pk_add_bf16 v86, v71, s[8:9] offset:256      // 0000000086F4: DD488100 00084756
	s_mov_b64 exec, s[36:37]                                   // 0000000086FC: BEFE0124
	s_mov_b64 exec, s[28:29]                                   // 000000008700: BEFE011C
	global_atomic_pk_add_bf16 v88, v72, s[8:9]                 // 000000008704: DD488000 00084858
	s_mov_b64 exec, s[36:37]                                   // 00000000870C: BEFE0124
	s_mov_b64 exec, s[28:29]                                   // 000000008710: BEFE011C
	global_atomic_pk_add_bf16 v88, v73, s[8:9] offset:256      // 000000008714: DD488100 00084958
	s_mov_b64 exec, s[36:37]                                   // 00000000871C: BEFE0124
	s_mov_b64 exec, s[30:31]                                   // 000000008720: BEFE011E
	global_atomic_pk_add_bf16 v90, v74, s[8:9]                 // 000000008724: DD488000 00084A5A
	s_mov_b64 exec, s[36:37]                                   // 00000000872C: BEFE0124
	s_mov_b64 exec, s[30:31]                                   // 000000008730: BEFE011E
	global_atomic_pk_add_bf16 v90, v75, s[8:9] offset:256      // 000000008734: DD488100 00084B5A
	s_mov_b64 exec, s[36:37]                                   // 00000000873C: BEFE0124
	s_mov_b64 exec, s[32:33]                                   // 000000008740: BEFE0120
	global_atomic_pk_add_bf16 v92, v76, s[8:9]                 // 000000008744: DD488000 00084C5C
	s_mov_b64 exec, s[36:37]                                   // 00000000874C: BEFE0124
	s_mov_b64 exec, s[32:33]                                   // 000000008750: BEFE0120
	global_atomic_pk_add_bf16 v92, v77, s[8:9] offset:256      // 000000008754: DD488100 00084D5C
	s_mov_b64 exec, s[36:37]                                   // 00000000875C: BEFE0124
	s_mov_b64 exec, s[34:35]                                   // 000000008760: BEFE0122
	global_atomic_pk_add_bf16 v94, v78, s[8:9]                 // 000000008764: DD488000 00084E5E
	s_mov_b64 exec, s[36:37]                                   // 00000000876C: BEFE0124
	s_mov_b64 exec, s[34:35]                                   // 000000008770: BEFE0122
	global_atomic_pk_add_bf16 v94, v79, s[8:9] offset:256      // 000000008774: DD488100 00084F5E
	s_mov_b64 exec, s[36:37]                                   // 00000000877C: BEFE0124
	s_add_u32 s8, s55, s8                                      // 000000008780: 80080837
	s_addc_u32 s9, 0, s9                                       // 000000008784: 82090980
	ds_write_b64 v4, v[192:193] offset:38400                   // 000000008788: D89A9600 0000C004
	ds_write_b64 v4, v[194:195] offset:47104                   // 000000008790: D89AB800 0000C204
	ds_write_b64 v4, v[196:197] offset:40576                   // 000000008798: D89A9E80 0000C404
	ds_write_b64 v4, v[198:199] offset:49280                   // 0000000087A0: D89AC080 0000C604
	ds_write_b64 v4, v[200:201] offset:42752                   // 0000000087A8: D89AA700 0000C804
	ds_write_b64 v4, v[202:203] offset:51456                   // 0000000087B0: D89AC900 0000CA04
	ds_write_b64 v4, v[204:205] offset:44928                   // 0000000087B8: D89AAF80 0000CC04
	ds_write_b64 v4, v[206:207] offset:53632                   // 0000000087C0: D89AD180 0000CE04
	s_waitcnt lgkmcnt(0)                                       // 0000000087C8: BF8CC07F
	s_barrier                                                  // 0000000087CC: BF8A0000
	ds_read_b32 v64, v6 offset:38400                           // 0000000087D0: D86C9600 40000006
	ds_read_b32 v65, v6 offset:42752                           // 0000000087D8: D86CA700 41000006
	ds_read_b32 v66, v6 offset:38408                           // 0000000087E0: D86C9608 42000006
	ds_read_b32 v67, v6 offset:42760                           // 0000000087E8: D86CA708 43000006
	ds_read_b32 v68, v6 offset:38432                           // 0000000087F0: D86C9620 44000006
	ds_read_b32 v69, v6 offset:42784                           // 0000000087F8: D86CA720 45000006
	ds_read_b32 v70, v6 offset:38440                           // 000000008800: D86C9628 46000006
	ds_read_b32 v71, v6 offset:42792                           // 000000008808: D86CA728 47000006
	ds_read_b32 v72, v6 offset:47104                           // 000000008810: D86CB800 48000006
	ds_read_b32 v73, v6 offset:51456                           // 000000008818: D86CC900 49000006
	ds_read_b32 v74, v6 offset:47112                           // 000000008820: D86CB808 4A000006
	ds_read_b32 v75, v6 offset:51464                           // 000000008828: D86CC908 4B000006
	ds_read_b32 v76, v6 offset:47136                           // 000000008830: D86CB820 4C000006
	ds_read_b32 v77, v6 offset:51488                           // 000000008838: D86CC920 4D000006
	ds_read_b32 v78, v6 offset:47144                           // 000000008840: D86CB828 4E000006
	ds_read_b32 v79, v6 offset:51496                           // 000000008848: D86CC928 4F000006
	s_waitcnt lgkmcnt(0)                                       // 000000008850: BF8CC07F
	s_mov_b64 exec, s[20:21]                                   // 000000008854: BEFE0114
	global_atomic_pk_add_bf16 v80, v64, s[8:9]                 // 000000008858: DD488000 00084050
	s_mov_b64 exec, s[36:37]                                   // 000000008860: BEFE0124
	s_mov_b64 exec, s[20:21]                                   // 000000008864: BEFE0114
	global_atomic_pk_add_bf16 v80, v65, s[8:9] offset:256      // 000000008868: DD488100 00084150
	s_mov_b64 exec, s[36:37]                                   // 000000008870: BEFE0124
	s_mov_b64 exec, s[22:23]                                   // 000000008874: BEFE0116
	global_atomic_pk_add_bf16 v82, v66, s[8:9]                 // 000000008878: DD488000 00084252
	s_mov_b64 exec, s[36:37]                                   // 000000008880: BEFE0124
	s_mov_b64 exec, s[22:23]                                   // 000000008884: BEFE0116
	global_atomic_pk_add_bf16 v82, v67, s[8:9] offset:256      // 000000008888: DD488100 00084352
	s_mov_b64 exec, s[36:37]                                   // 000000008890: BEFE0124
	s_mov_b64 exec, s[24:25]                                   // 000000008894: BEFE0118
	global_atomic_pk_add_bf16 v84, v68, s[8:9]                 // 000000008898: DD488000 00084454
	s_mov_b64 exec, s[36:37]                                   // 0000000088A0: BEFE0124
	s_mov_b64 exec, s[24:25]                                   // 0000000088A4: BEFE0118
	global_atomic_pk_add_bf16 v84, v69, s[8:9] offset:256      // 0000000088A8: DD488100 00084554
	s_mov_b64 exec, s[36:37]                                   // 0000000088B0: BEFE0124
	s_mov_b64 exec, s[26:27]                                   // 0000000088B4: BEFE011A
	global_atomic_pk_add_bf16 v86, v70, s[8:9]                 // 0000000088B8: DD488000 00084656
	s_mov_b64 exec, s[36:37]                                   // 0000000088C0: BEFE0124
	s_mov_b64 exec, s[26:27]                                   // 0000000088C4: BEFE011A
	global_atomic_pk_add_bf16 v86, v71, s[8:9] offset:256      // 0000000088C8: DD488100 00084756
	s_mov_b64 exec, s[36:37]                                   // 0000000088D0: BEFE0124
	s_mov_b64 exec, s[28:29]                                   // 0000000088D4: BEFE011C
	global_atomic_pk_add_bf16 v88, v72, s[8:9]                 // 0000000088D8: DD488000 00084858
	s_mov_b64 exec, s[36:37]                                   // 0000000088E0: BEFE0124
	s_mov_b64 exec, s[28:29]                                   // 0000000088E4: BEFE011C
	global_atomic_pk_add_bf16 v88, v73, s[8:9] offset:256      // 0000000088E8: DD488100 00084958
	s_mov_b64 exec, s[36:37]                                   // 0000000088F0: BEFE0124
	s_mov_b64 exec, s[30:31]                                   // 0000000088F4: BEFE011E
	global_atomic_pk_add_bf16 v90, v74, s[8:9]                 // 0000000088F8: DD488000 00084A5A
	s_mov_b64 exec, s[36:37]                                   // 000000008900: BEFE0124
	s_mov_b64 exec, s[30:31]                                   // 000000008904: BEFE011E
	global_atomic_pk_add_bf16 v90, v75, s[8:9] offset:256      // 000000008908: DD488100 00084B5A
	s_mov_b64 exec, s[36:37]                                   // 000000008910: BEFE0124
	s_mov_b64 exec, s[32:33]                                   // 000000008914: BEFE0120
	global_atomic_pk_add_bf16 v92, v76, s[8:9]                 // 000000008918: DD488000 00084C5C
	s_mov_b64 exec, s[36:37]                                   // 000000008920: BEFE0124
	s_mov_b64 exec, s[32:33]                                   // 000000008924: BEFE0120
	global_atomic_pk_add_bf16 v92, v77, s[8:9] offset:256      // 000000008928: DD488100 00084D5C
	s_mov_b64 exec, s[36:37]                                   // 000000008930: BEFE0124
	s_mov_b64 exec, s[34:35]                                   // 000000008934: BEFE0122
	global_atomic_pk_add_bf16 v94, v78, s[8:9]                 // 000000008938: DD488000 00084E5E
	s_mov_b64 exec, s[36:37]                                   // 000000008940: BEFE0124
	s_mov_b64 exec, s[34:35]                                   // 000000008944: BEFE0122
	global_atomic_pk_add_bf16 v94, v79, s[8:9] offset:256      // 000000008948: DD488100 00084F5E
	s_mov_b64 exec, s[36:37]                                   // 000000008950: BEFE0124

0000000000008954 <label_16D5>:
	s_waitcnt vmcnt(0) expcnt(0) lgkmcnt(0)                    // 000000008954: BF8C0000
	s_add_u32 s101, s101, 1                                    // 000000008958: 80658165
	s_cmp_eq_u32 s59, 0                                        // 00000000895C: BF06803B
	s_cbranch_scc0 label_0039                                  // 000000008960: BF84E960

0000000000008964 <label_16D9>:
	s_waitcnt vmcnt(0) expcnt(0) lgkmcnt(0)                    // 000000008964: BF8C0000
	s_endpgm                                                   // 000000008968: BF810000
